;; amdgpu-corpus repo=zjin-lcf/HeCBench kind=compiled arch=gfx906 opt=O3
	.amdgcn_target "amdgcn-amd-amdhsa--gfx906"
	.amdhsa_code_object_version 6
	.text
	.protected	_Z8loss_bwdI6__halfS0_EvPKT_PKT0_S6_PKlS3_S8_PS4_ ; -- Begin function _Z8loss_bwdI6__halfS0_EvPKT_PKT0_S6_PKlS3_S8_PS4_
	.globl	_Z8loss_bwdI6__halfS0_EvPKT_PKT0_S6_PKlS3_S8_PS4_
	.p2align	8
	.type	_Z8loss_bwdI6__halfS0_EvPKT_PKT0_S6_PKlS3_S8_PS4_,@function
_Z8loss_bwdI6__halfS0_EvPKT_PKT0_S6_PKlS3_S8_PS4_: ; @_Z8loss_bwdI6__halfS0_EvPKT_PKT0_S6_PKlS3_S8_PS4_
; %bb.0:
	v_lshl_add_u32 v0, s6, 6, v0
	s_movk_i32 s0, 0x221c
	v_cmp_gt_i32_e32 vcc, s0, v0
	s_and_saveexec_b64 s[0:1], vcc
	s_cbranch_execz .LBB0_4
; %bb.1:
	s_load_dwordx4 s[0:3], s[4:5], 0x0
	s_load_dwordx8 s[8:15], s[4:5], 0x18
	s_mul_i32 s6, s7, 0x221c
	v_add_u32_e32 v2, s6, v0
	v_ashrrev_i32_e32 v3, 31, v2
	v_lshlrev_b64 v[4:5], 3, v[2:3]
	s_waitcnt lgkmcnt(0)
	v_mov_b32_e32 v1, s9
	v_add_co_u32_e32 v0, vcc, s8, v4
	v_addc_co_u32_e32 v1, vcc, v1, v5, vcc
	global_load_dwordx2 v[0:1], v[0:1], off
	s_waitcnt vmcnt(0)
	v_mov_b32_e32 v1, s13
	v_add_co_u32_e32 v4, vcc, s12, v4
	v_lshlrev_b64 v[6:7], 1, v[2:3]
	v_addc_co_u32_e32 v5, vcc, v1, v5, vcc
	global_load_dwordx2 v[4:5], v[4:5], off
	v_mov_b32_e32 v1, s3
	v_add_co_u32_e32 v8, vcc, s2, v6
	v_addc_co_u32_e32 v9, vcc, v1, v7, vcc
	global_load_ushort v14, v[8:9], off
	s_waitcnt vmcnt(1)
	v_cmp_ne_u64_e32 vcc, 0, v[4:5]
	s_and_saveexec_b64 s[2:3], vcc
	s_cbranch_execz .LBB0_3
; %bb.2:
	s_load_dwordx2 s[4:5], s[4:5], 0x10
	s_waitcnt lgkmcnt(0)
	v_mov_b32_e32 v1, s5
	v_add_co_u32_e32 v3, vcc, s4, v6
	v_addc_co_u32_e32 v4, vcc, v1, v7, vcc
	global_load_ushort v1, v[3:4], off
	s_waitcnt vmcnt(0)
	v_add_f16_e32 v14, v14, v1
.LBB0_3:
	s_or_b64 exec, exec, s[2:3]
	s_mul_i32 s7, s7, 0xaa8c0
	v_add_u32_e32 v1, s7, v2
	s_movk_i32 s2, 0x221c
	v_mad_u64_u32 v[8:9], s[2:3], v0, s2, v[1:2]
	v_ashrrev_i32_e32 v2, 31, v1
	v_lshlrev_b64 v[4:5], 1, v[1:2]
	v_mov_b32_e32 v3, s1
	v_add_co_u32_e32 v2, vcc, s0, v4
	v_addc_co_u32_e32 v3, vcc, v3, v5, vcc
	v_mov_b32_e32 v10, s11
	global_load_ushort v16, v[2:3], off
	v_add_co_u32_e32 v2, vcc, s10, v6
	v_addc_co_u32_e32 v3, vcc, v10, v7, vcc
	v_ashrrev_i32_e32 v9, 31, v8
	global_load_ushort v15, v[2:3], off
	v_lshlrev_b64 v[2:3], 1, v[8:9]
	v_mov_b32_e32 v6, s1
	v_add_co_u32_e32 v2, vcc, s0, v2
	v_addc_co_u32_e32 v3, vcc, v6, v3, vcc
	v_add_u32_e32 v6, 0x221c, v1
	v_ashrrev_i32_e32 v7, 31, v6
	v_lshlrev_b64 v[10:11], 1, v[6:7]
	v_mov_b32_e32 v8, s1
	v_add_co_u32_e32 v6, vcc, s0, v10
	v_addc_co_u32_e32 v7, vcc, v8, v11, vcc
	v_add_u32_e32 v8, 0x4438, v1
	v_ashrrev_i32_e32 v9, 31, v8
	v_lshlrev_b64 v[12:13], 1, v[8:9]
	v_mov_b32_e32 v17, s1
	v_add_co_u32_e32 v8, vcc, s0, v12
	v_addc_co_u32_e32 v9, vcc, v17, v13, vcc
	v_mov_b32_e32 v18, s15
	v_add_co_u32_e32 v21, vcc, s14, v4
	v_addc_co_u32_e32 v22, vcc, v18, v5, vcc
	v_mov_b32_e32 v19, s15
	v_add_co_u32_e32 v23, vcc, s14, v10
	v_addc_co_u32_e32 v24, vcc, v19, v11, vcc
	v_mov_b32_e32 v4, s15
	v_add_co_u32_e32 v12, vcc, s14, v12
	v_addc_co_u32_e32 v13, vcc, v4, v13, vcc
	v_add_u32_e32 v4, 0x6654, v1
	v_ashrrev_i32_e32 v5, 31, v4
	v_lshlrev_b64 v[25:26], 1, v[4:5]
	v_add_u32_e32 v4, 0x8870, v1
	v_ashrrev_i32_e32 v5, 31, v4
	v_add_co_u32_e32 v18, vcc, s0, v25
	v_lshlrev_b64 v[27:28], 1, v[4:5]
	v_addc_co_u32_e32 v19, vcc, v17, v26, vcc
	v_add_u32_e32 v4, 0xaa8c, v1
	v_mov_b32_e32 v10, s1
	v_add_co_u32_e32 v29, vcc, s0, v27
	v_ashrrev_i32_e32 v5, 31, v4
	v_addc_co_u32_e32 v30, vcc, v10, v28, vcc
	v_lshlrev_b64 v[10:11], 1, v[4:5]
	v_mov_b32_e32 v4, s1
	v_add_co_u32_e32 v31, vcc, s0, v10
	v_addc_co_u32_e32 v32, vcc, v4, v11, vcc
	v_add_u32_e32 v4, 0xcca8, v1
	v_ashrrev_i32_e32 v5, 31, v4
	v_lshlrev_b64 v[4:5], 1, v[4:5]
	s_movk_i32 s2, 0x41
	v_add_co_u32_e32 v33, vcc, s0, v4
	v_addc_co_u32_e32 v34, vcc, v17, v5, vcc
	global_load_ushort v6, v[6:7], off
	s_nop 0
	global_load_ushort v7, v[8:9], off
	s_nop 0
	global_load_ushort v9, v[18:19], off
	global_load_ushort v17, v[29:30], off
	;; [unrolled: 1-line block ×3, first 2 shown]
                                        ; kill: killed $vgpr31 killed $vgpr32
                                        ; kill: killed $vgpr29 killed $vgpr30
	global_load_ushort v8, v[33:34], off
	s_nop 0
	global_load_ushort v19, v[2:3], off
	v_cmp_eq_u32_e32 vcc, 0, v0
	v_mov_b32_e32 v30, s1
	s_waitcnt vmcnt(8)
	v_cvt_f32_f16_e32 v2, v16
	v_mul_f32_e32 v2, 0x3fb8aa3b, v2
	v_exp_f32_e32 v2, v2
	s_waitcnt vmcnt(7)
	v_mul_f16_e64 v18, v15, -v14
	v_cvt_f16_f32_e32 v2, v2
	v_cvt_f32_f16_e32 v3, v2
	s_waitcnt vmcnt(1)
	v_cvt_f32_f16_e32 v8, v8
	s_waitcnt vmcnt(0)
	v_mul_f16_e32 v19, v18, v19
	v_cvt_f32_f16_e32 v20, v19
	v_fma_mix_f32 v2, -v19, v2, v18 op_sel_hi:[1,1,1]
	v_mul_f32_e32 v8, 0x3fb8aa3b, v8
	v_exp_f32_e32 v8, v8
	v_mul_f32_e64 v3, v20, -v3
	v_cndmask_b32_e32 v2, v3, v2, vcc
	v_cvt_f32_f16_e32 v3, v6
	v_cvt_f16_f32_e32 v2, v2
	v_cvt_f32_f16_e32 v6, v7
	v_cvt_f32_f16_e32 v7, v9
	v_mul_f32_e32 v3, 0x3fb8aa3b, v3
	v_exp_f32_e32 v3, v3
	global_store_short v[21:22], v2, off
	v_mul_f32_e32 v2, 0x3fb8aa3b, v6
	v_exp_f32_e32 v2, v2
	v_cvt_f16_f32_e32 v3, v3
	v_cmp_eq_u32_e32 vcc, 1, v0
	v_mul_f32_e32 v7, 0x3fb8aa3b, v7
	v_cvt_f16_f32_e32 v2, v2
	v_cvt_f32_f16_e32 v6, v3
	v_fma_mix_f32 v3, -v19, v3, v18 op_sel_hi:[1,1,1]
	v_exp_f32_e32 v7, v7
	v_cvt_f16_f32_e32 v8, v8
	v_mul_f32_e64 v6, v20, -v6
	v_cndmask_b32_e32 v3, v6, v3, vcc
	v_cvt_f32_f16_e32 v6, v2
	v_cvt_f16_f32_e32 v3, v3
	v_fma_mix_f32 v2, -v19, v2, v18 op_sel_hi:[1,1,1]
	v_cmp_eq_u32_e32 vcc, 2, v0
	v_mul_f32_e64 v6, v20, -v6
	v_cndmask_b32_e32 v2, v6, v2, vcc
	v_cvt_f16_f32_e32 v2, v2
	global_store_short v[23:24], v3, off
	v_cvt_f16_f32_e32 v3, v7
	v_cvt_f32_f16_e32 v6, v17
	global_store_short v[12:13], v2, off
	v_cmp_eq_u32_e32 vcc, 3, v0
	v_cvt_f32_f16_e32 v2, v3
	v_mul_f32_e32 v6, 0x3fb8aa3b, v6
	v_exp_f32_e32 v6, v6
	v_fma_mix_f32 v3, -v19, v3, v18 op_sel_hi:[1,1,1]
	v_mul_f32_e64 v2, v20, -v2
	v_cndmask_b32_e32 v2, v2, v3, vcc
	v_cvt_f16_f32_e32 v9, v2
	v_mov_b32_e32 v7, s15
	v_add_co_u32_e32 v2, vcc, s14, v25
	v_cvt_f16_f32_e32 v14, v6
	v_add_u32_e32 v6, 0xeec4, v1
	v_addc_co_u32_e32 v3, vcc, v7, v26, vcc
	v_ashrrev_i32_e32 v7, 31, v6
	global_store_short v[2:3], v9, off
	v_mov_b32_e32 v3, s15
	v_add_co_u32_e32 v2, vcc, s14, v27
	v_lshlrev_b64 v[6:7], 1, v[6:7]
	v_addc_co_u32_e32 v3, vcc, v3, v28, vcc
	v_mov_b32_e32 v9, s1
	v_add_co_u32_e32 v12, vcc, s0, v6
	v_addc_co_u32_e32 v13, vcc, v9, v7, vcc
	global_load_ushort v21, v[12:13], off
	v_cvt_f32_f16_e32 v15, v14
	v_cvt_f32_f16_e32 v9, v35
	v_fma_mix_f32 v14, -v19, v14, v18 op_sel_hi:[1,1,1]
	v_cmp_eq_u32_e32 vcc, 4, v0
	v_mul_f32_e64 v15, v20, -v15
	v_mul_f32_e32 v9, 0x3fb8aa3b, v9
	v_cndmask_b32_e32 v14, v15, v14, vcc
	v_exp_f32_e32 v12, v9
	v_cvt_f16_f32_e32 v14, v14
	v_add_co_u32_e32 v9, vcc, s14, v10
	v_cvt_f16_f32_e32 v13, v12
	global_store_short v[2:3], v14, off
	v_mov_b32_e32 v2, s15
	v_addc_co_u32_e32 v10, vcc, v2, v11, vcc
	v_add_u32_e32 v2, 0x110e0, v1
	v_ashrrev_i32_e32 v3, 31, v2
	v_lshlrev_b64 v[2:3], 1, v[2:3]
	v_cvt_f32_f16_e32 v14, v13
	v_mov_b32_e32 v12, s1
	v_add_co_u32_e32 v11, vcc, s0, v2
	v_addc_co_u32_e32 v12, vcc, v12, v3, vcc
	v_fma_mix_f32 v13, -v19, v13, v18 op_sel_hi:[1,1,1]
	v_mul_f32_e64 v14, v20, -v14
	v_cmp_eq_u32_e32 vcc, 5, v0
	v_cndmask_b32_e32 v13, v14, v13, vcc
	v_cvt_f16_f32_e32 v13, v13
	global_load_ushort v22, v[11:12], off
	v_mov_b32_e32 v12, s1
	global_store_short v[9:10], v13, off
	v_mov_b32_e32 v9, s15
	v_add_co_u32_e32 v10, vcc, s14, v4
	v_addc_co_u32_e32 v11, vcc, v9, v5, vcc
	v_cvt_f32_f16_e32 v9, v8
	v_add_u32_e32 v4, 0x132fc, v1
	v_fma_mix_f32 v8, -v19, v8, v18 op_sel_hi:[1,1,1]
	v_cmp_eq_u32_e32 vcc, 6, v0
	v_mul_f32_e64 v9, v20, -v9
	v_ashrrev_i32_e32 v5, 31, v4
	v_cndmask_b32_e32 v8, v9, v8, vcc
	v_lshlrev_b64 v[4:5], 1, v[4:5]
	v_cvt_f16_f32_e32 v13, v8
	v_add_co_u32_e32 v8, vcc, s0, v4
	v_addc_co_u32_e32 v9, vcc, v12, v5, vcc
	global_store_short v[10:11], v13, off
	v_mov_b32_e32 v10, s15
	v_add_co_u32_e32 v6, vcc, s14, v6
	v_addc_co_u32_e32 v7, vcc, v10, v7, vcc
	v_add_u32_e32 v10, 0x15518, v1
	v_ashrrev_i32_e32 v11, 31, v10
	v_lshlrev_b64 v[12:13], 1, v[10:11]
	v_mov_b32_e32 v11, s1
	v_add_co_u32_e32 v10, vcc, s0, v12
	v_addc_co_u32_e32 v11, vcc, v11, v13, vcc
	global_load_ushort v31, v[8:9], off
	global_load_ushort v32, v[10:11], off
	v_add_u32_e32 v8, 0x17734, v1
	v_ashrrev_i32_e32 v9, 31, v8
	v_lshlrev_b64 v[14:15], 1, v[8:9]
	v_mov_b32_e32 v8, s1
	v_add_co_u32_e32 v23, vcc, s0, v14
	v_addc_co_u32_e32 v24, vcc, v8, v15, vcc
	v_add_u32_e32 v8, 0x19950, v1
	v_ashrrev_i32_e32 v9, 31, v8
	v_lshlrev_b64 v[16:17], 1, v[8:9]
	v_mov_b32_e32 v8, s1
	v_add_co_u32_e32 v25, vcc, s0, v16
	v_addc_co_u32_e32 v26, vcc, v8, v17, vcc
	;; [unrolled: 6-line block ×3, first 2 shown]
	v_add_u32_e32 v8, 0x1dd88, v1
	v_ashrrev_i32_e32 v9, 31, v8
	v_lshlrev_b64 v[8:9], 1, v[8:9]
	s_waitcnt vmcnt(6)
	v_cvt_f32_f16_e32 v21, v21
	v_add_co_u32_e32 v29, vcc, s0, v8
	v_addc_co_u32_e32 v30, vcc, v30, v9, vcc
	global_load_ushort v33, v[23:24], off
	s_nop 0
	global_load_ushort v25, v[25:26], off
	s_nop 0
	global_load_ushort v24, v[27:28], off
	global_load_ushort v23, v[29:30], off
	v_mul_f32_e32 v21, 0x3fb8aa3b, v21
	v_exp_f32_e32 v21, v21
	v_cmp_eq_u32_e32 vcc, 7, v0
	v_mov_b32_e32 v30, s1
	v_cvt_f16_f32_e32 v21, v21
	v_cvt_f32_f16_e32 v26, v21
	v_fma_mix_f32 v21, -v19, v21, v18 op_sel_hi:[1,1,1]
	v_mul_f32_e64 v26, v20, -v26
	v_cndmask_b32_e32 v21, v26, v21, vcc
	v_cvt_f16_f32_e32 v21, v21
	v_add_co_u32_e32 v2, vcc, s14, v2
	global_store_short v[6:7], v21, off
	v_mov_b32_e32 v6, s15
	v_addc_co_u32_e32 v3, vcc, v6, v3, vcc
	s_waitcnt vmcnt(9)
	v_cvt_f32_f16_e32 v6, v22
	v_cmp_eq_u32_e32 vcc, 8, v0
	v_mul_f32_e32 v6, 0x3fb8aa3b, v6
	v_exp_f32_e32 v6, v6
	v_cvt_f16_f32_e32 v6, v6
	v_cvt_f32_f16_e32 v7, v6
	v_fma_mix_f32 v6, -v19, v6, v18 op_sel_hi:[1,1,1]
	v_mul_f32_e64 v7, v20, -v7
	v_cndmask_b32_e32 v6, v7, v6, vcc
	v_cvt_f16_f32_e32 v6, v6
	v_cmp_eq_u32_e32 vcc, 9, v0
	s_waitcnt vmcnt(6)
	v_cvt_f32_f16_e32 v7, v31
	global_store_short v[2:3], v6, off
	s_waitcnt vmcnt(6)
	v_cvt_f32_f16_e32 v3, v32
	v_mov_b32_e32 v6, s15
	v_mul_f32_e32 v7, 0x3fb8aa3b, v7
	v_exp_f32_e32 v7, v7
	v_mul_f32_e32 v3, 0x3fb8aa3b, v3
	v_exp_f32_e32 v3, v3
	v_cvt_f16_f32_e32 v7, v7
	v_cvt_f16_f32_e32 v21, v3
	v_cvt_f32_f16_e32 v2, v7
	v_fma_mix_f32 v7, -v19, v7, v18 op_sel_hi:[1,1,1]
	v_mul_f32_e64 v2, v20, -v2
	v_cndmask_b32_e32 v2, v2, v7, vcc
	v_cvt_f16_f32_e32 v7, v2
	v_add_co_u32_e32 v2, vcc, s14, v4
	v_cvt_f32_f16_e32 v4, v21
	v_addc_co_u32_e32 v3, vcc, v6, v5, vcc
	global_store_short v[2:3], v7, off
	v_fma_mix_f32 v2, -v19, v21, v18 op_sel_hi:[1,1,1]
	v_mul_f32_e64 v4, v20, -v4
	v_cmp_eq_u32_e32 vcc, 10, v0
	v_cndmask_b32_e32 v2, v4, v2, vcc
	v_cvt_f16_f32_e32 v4, v2
	s_waitcnt vmcnt(6)
	v_cvt_f32_f16_e32 v5, v33
	v_mov_b32_e32 v3, s15
	s_waitcnt vmcnt(5)
	v_cvt_f32_f16_e32 v6, v25
	v_mul_f32_e32 v2, 0x3fb8aa3b, v5
	v_exp_f32_e32 v5, v2
	v_add_co_u32_e32 v2, vcc, s14, v12
	v_addc_co_u32_e32 v3, vcc, v3, v13, vcc
	v_cvt_f16_f32_e32 v5, v5
	global_store_short v[2:3], v4, off
	v_mul_f32_e32 v4, 0x3fb8aa3b, v6
	v_cmp_eq_u32_e32 vcc, 11, v0
	v_cvt_f32_f16_e32 v2, v5
	v_fma_mix_f32 v5, -v19, v5, v18 op_sel_hi:[1,1,1]
	v_exp_f32_e32 v4, v4
	v_mov_b32_e32 v3, s15
	v_mul_f32_e64 v2, v20, -v2
	v_cndmask_b32_e32 v2, v2, v5, vcc
	v_cvt_f16_f32_e32 v5, v2
	v_add_co_u32_e32 v2, vcc, s14, v14
	v_addc_co_u32_e32 v3, vcc, v3, v15, vcc
	v_cvt_f16_f32_e32 v12, v4
	v_add_u32_e32 v4, 0x1ffa4, v1
	global_store_short v[2:3], v5, off
	v_ashrrev_i32_e32 v5, 31, v4
	v_mov_b32_e32 v3, s15
	v_add_co_u32_e32 v2, vcc, s14, v16
	v_lshlrev_b64 v[6:7], 1, v[4:5]
	v_addc_co_u32_e32 v3, vcc, v3, v17, vcc
	v_mov_b32_e32 v5, s1
	v_add_co_u32_e32 v4, vcc, s0, v6
	v_addc_co_u32_e32 v5, vcc, v5, v7, vcc
	global_load_ushort v21, v[4:5], off
	v_cvt_f32_f16_e32 v13, v12
	s_waitcnt vmcnt(7)
	v_cvt_f32_f16_e32 v14, v24
	v_fma_mix_f32 v12, -v19, v12, v18 op_sel_hi:[1,1,1]
	v_cmp_eq_u32_e32 vcc, 12, v0
	v_mul_f32_e64 v13, v20, -v13
	v_mul_f32_e32 v4, 0x3fb8aa3b, v14
	v_cndmask_b32_e32 v12, v13, v12, vcc
	v_exp_f32_e32 v13, v4
	v_cvt_f16_f32_e32 v12, v12
	v_add_co_u32_e32 v4, vcc, s14, v10
	v_cvt_f16_f32_e32 v10, v13
	global_store_short v[2:3], v12, off
	s_waitcnt vmcnt(7)
	v_cvt_f32_f16_e32 v12, v23
	v_mov_b32_e32 v2, s15
	v_addc_co_u32_e32 v5, vcc, v2, v11, vcc
	v_cvt_f32_f16_e32 v11, v10
	v_add_u32_e32 v2, 0x221c0, v1
	v_mul_f32_e32 v12, 0x3fb8aa3b, v12
	v_ashrrev_i32_e32 v3, 31, v2
	v_exp_f32_e32 v12, v12
	v_lshlrev_b64 v[2:3], 1, v[2:3]
	v_fma_mix_f32 v10, -v19, v10, v18 op_sel_hi:[1,1,1]
	v_mul_f32_e64 v11, v20, -v11
	v_cmp_eq_u32_e32 vcc, 13, v0
	v_cndmask_b32_e32 v10, v11, v10, vcc
	v_mov_b32_e32 v13, s1
	v_cvt_f16_f32_e32 v14, v10
	v_add_co_u32_e32 v10, vcc, s0, v2
	v_addc_co_u32_e32 v11, vcc, v13, v3, vcc
	v_cvt_f16_f32_e32 v12, v12
	global_load_ushort v22, v[10:11], off
	v_add_co_u32_e32 v10, vcc, s14, v8
	v_cvt_f32_f16_e32 v8, v12
	global_store_short v[4:5], v14, off
	v_mov_b32_e32 v4, s15
	v_addc_co_u32_e32 v11, vcc, v4, v9, vcc
	v_add_u32_e32 v4, 0x243dc, v1
	v_fma_mix_f32 v12, -v19, v12, v18 op_sel_hi:[1,1,1]
	v_mul_f32_e64 v8, v20, -v8
	v_cmp_eq_u32_e32 vcc, 14, v0
	v_ashrrev_i32_e32 v5, 31, v4
	v_cndmask_b32_e32 v8, v8, v12, vcc
	v_lshlrev_b64 v[4:5], 1, v[4:5]
	v_cvt_f16_f32_e32 v12, v8
	v_mov_b32_e32 v9, s1
	v_add_co_u32_e32 v8, vcc, s0, v4
	v_addc_co_u32_e32 v9, vcc, v9, v5, vcc
	global_store_short v[10:11], v12, off
	v_mov_b32_e32 v10, s15
	v_add_co_u32_e32 v6, vcc, s14, v6
	v_addc_co_u32_e32 v7, vcc, v10, v7, vcc
	v_add_u32_e32 v10, 0x265f8, v1
	v_ashrrev_i32_e32 v11, 31, v10
	v_lshlrev_b64 v[12:13], 1, v[10:11]
	v_mov_b32_e32 v11, s1
	v_add_co_u32_e32 v10, vcc, s0, v12
	v_addc_co_u32_e32 v11, vcc, v11, v13, vcc
	global_load_ushort v31, v[8:9], off
	global_load_ushort v32, v[10:11], off
	v_add_u32_e32 v8, 0x28814, v1
	v_ashrrev_i32_e32 v9, 31, v8
	v_lshlrev_b64 v[14:15], 1, v[8:9]
	v_mov_b32_e32 v8, s1
	v_add_co_u32_e32 v23, vcc, s0, v14
	v_addc_co_u32_e32 v24, vcc, v8, v15, vcc
	v_add_u32_e32 v8, 0x2aa30, v1
	v_ashrrev_i32_e32 v9, 31, v8
	v_lshlrev_b64 v[16:17], 1, v[8:9]
	v_mov_b32_e32 v8, s1
	v_add_co_u32_e32 v25, vcc, s0, v16
	v_addc_co_u32_e32 v26, vcc, v8, v17, vcc
	;; [unrolled: 6-line block ×3, first 2 shown]
	v_add_u32_e32 v8, 0x2ee68, v1
	v_ashrrev_i32_e32 v9, 31, v8
	v_lshlrev_b64 v[8:9], 1, v[8:9]
	s_waitcnt vmcnt(6)
	v_cvt_f32_f16_e32 v21, v21
	v_add_co_u32_e32 v29, vcc, s0, v8
	v_addc_co_u32_e32 v30, vcc, v30, v9, vcc
	global_load_ushort v33, v[23:24], off
	s_nop 0
	global_load_ushort v25, v[25:26], off
	s_nop 0
	global_load_ushort v24, v[27:28], off
	global_load_ushort v23, v[29:30], off
	v_mul_f32_e32 v21, 0x3fb8aa3b, v21
	v_exp_f32_e32 v21, v21
	v_cmp_eq_u32_e32 vcc, 15, v0
	v_mov_b32_e32 v30, s1
	v_cvt_f16_f32_e32 v21, v21
	v_cvt_f32_f16_e32 v26, v21
	v_fma_mix_f32 v21, -v19, v21, v18 op_sel_hi:[1,1,1]
	v_mul_f32_e64 v26, v20, -v26
	v_cndmask_b32_e32 v21, v26, v21, vcc
	v_cvt_f16_f32_e32 v21, v21
	v_add_co_u32_e32 v2, vcc, s14, v2
	global_store_short v[6:7], v21, off
	v_mov_b32_e32 v6, s15
	v_addc_co_u32_e32 v3, vcc, v6, v3, vcc
	s_waitcnt vmcnt(9)
	v_cvt_f32_f16_e32 v6, v22
	v_cmp_eq_u32_e32 vcc, 16, v0
	v_mul_f32_e32 v6, 0x3fb8aa3b, v6
	v_exp_f32_e32 v6, v6
	v_cvt_f16_f32_e32 v6, v6
	v_cvt_f32_f16_e32 v7, v6
	v_fma_mix_f32 v6, -v19, v6, v18 op_sel_hi:[1,1,1]
	v_mul_f32_e64 v7, v20, -v7
	v_cndmask_b32_e32 v6, v7, v6, vcc
	v_cvt_f16_f32_e32 v6, v6
	v_cmp_eq_u32_e32 vcc, 17, v0
	s_waitcnt vmcnt(6)
	v_cvt_f32_f16_e32 v7, v31
	global_store_short v[2:3], v6, off
	s_waitcnt vmcnt(6)
	v_cvt_f32_f16_e32 v3, v32
	v_mov_b32_e32 v6, s15
	v_mul_f32_e32 v7, 0x3fb8aa3b, v7
	v_exp_f32_e32 v7, v7
	v_mul_f32_e32 v3, 0x3fb8aa3b, v3
	v_exp_f32_e32 v3, v3
	v_cvt_f16_f32_e32 v7, v7
	v_cvt_f16_f32_e32 v21, v3
	v_cvt_f32_f16_e32 v2, v7
	v_fma_mix_f32 v7, -v19, v7, v18 op_sel_hi:[1,1,1]
	v_mul_f32_e64 v2, v20, -v2
	v_cndmask_b32_e32 v2, v2, v7, vcc
	v_cvt_f16_f32_e32 v7, v2
	v_add_co_u32_e32 v2, vcc, s14, v4
	v_cvt_f32_f16_e32 v4, v21
	v_addc_co_u32_e32 v3, vcc, v6, v5, vcc
	global_store_short v[2:3], v7, off
	v_fma_mix_f32 v2, -v19, v21, v18 op_sel_hi:[1,1,1]
	v_mul_f32_e64 v4, v20, -v4
	v_cmp_eq_u32_e32 vcc, 18, v0
	v_cndmask_b32_e32 v2, v4, v2, vcc
	v_cvt_f16_f32_e32 v4, v2
	s_waitcnt vmcnt(6)
	v_cvt_f32_f16_e32 v5, v33
	v_mov_b32_e32 v3, s15
	s_waitcnt vmcnt(5)
	v_cvt_f32_f16_e32 v6, v25
	v_mul_f32_e32 v2, 0x3fb8aa3b, v5
	v_exp_f32_e32 v5, v2
	v_add_co_u32_e32 v2, vcc, s14, v12
	v_addc_co_u32_e32 v3, vcc, v3, v13, vcc
	v_cvt_f16_f32_e32 v5, v5
	global_store_short v[2:3], v4, off
	v_mul_f32_e32 v4, 0x3fb8aa3b, v6
	v_cmp_eq_u32_e32 vcc, 19, v0
	v_cvt_f32_f16_e32 v2, v5
	v_fma_mix_f32 v5, -v19, v5, v18 op_sel_hi:[1,1,1]
	v_exp_f32_e32 v4, v4
	v_mov_b32_e32 v3, s15
	v_mul_f32_e64 v2, v20, -v2
	v_cndmask_b32_e32 v2, v2, v5, vcc
	v_cvt_f16_f32_e32 v5, v2
	v_add_co_u32_e32 v2, vcc, s14, v14
	v_addc_co_u32_e32 v3, vcc, v3, v15, vcc
	v_cvt_f16_f32_e32 v12, v4
	v_add_u32_e32 v4, 0x31084, v1
	global_store_short v[2:3], v5, off
	v_ashrrev_i32_e32 v5, 31, v4
	v_mov_b32_e32 v3, s15
	v_add_co_u32_e32 v2, vcc, s14, v16
	v_lshlrev_b64 v[6:7], 1, v[4:5]
	v_addc_co_u32_e32 v3, vcc, v3, v17, vcc
	v_mov_b32_e32 v5, s1
	v_add_co_u32_e32 v4, vcc, s0, v6
	v_cvt_f32_f16_e32 v13, v12
	v_addc_co_u32_e32 v5, vcc, v5, v7, vcc
	s_waitcnt vmcnt(6)
	v_cvt_f32_f16_e32 v14, v24
	global_load_ushort v21, v[4:5], off
	v_fma_mix_f32 v12, -v19, v12, v18 op_sel_hi:[1,1,1]
	v_mul_f32_e64 v13, v20, -v13
	v_cmp_eq_u32_e32 vcc, 20, v0
	v_cndmask_b32_e32 v12, v13, v12, vcc
	v_mul_f32_e32 v4, 0x3fb8aa3b, v14
	v_cvt_f16_f32_e32 v12, v12
	v_exp_f32_e32 v13, v4
	v_add_co_u32_e32 v4, vcc, s14, v10
	global_store_short v[2:3], v12, off
	v_cvt_f16_f32_e32 v12, v13
	v_mov_b32_e32 v2, s15
	v_addc_co_u32_e32 v5, vcc, v2, v11, vcc
	v_add_u32_e32 v2, 0x332a0, v1
	v_ashrrev_i32_e32 v3, 31, v2
	v_lshlrev_b64 v[2:3], 1, v[2:3]
	v_cvt_f32_f16_e32 v13, v12
	s_waitcnt vmcnt(7)
	v_cvt_f32_f16_e32 v14, v23
	v_mov_b32_e32 v11, s1
	v_add_co_u32_e32 v10, vcc, s0, v2
	v_addc_co_u32_e32 v11, vcc, v11, v3, vcc
	v_fma_mix_f32 v12, -v19, v12, v18 op_sel_hi:[1,1,1]
	v_mul_f32_e64 v13, v20, -v13
	v_cmp_eq_u32_e32 vcc, 21, v0
	v_cndmask_b32_e32 v12, v13, v12, vcc
	v_mul_f32_e32 v13, 0x3fb8aa3b, v14
	v_cvt_f16_f32_e32 v12, v12
	v_exp_f32_e32 v13, v13
	global_load_ushort v22, v[10:11], off
	v_add_co_u32_e32 v10, vcc, s14, v8
	global_store_short v[4:5], v12, off
	v_cvt_f16_f32_e32 v12, v13
	v_mov_b32_e32 v4, s15
	v_addc_co_u32_e32 v11, vcc, v4, v9, vcc
	v_cvt_f32_f16_e32 v8, v12
	v_add_u32_e32 v4, 0x354bc, v1
	v_fma_mix_f32 v12, -v19, v12, v18 op_sel_hi:[1,1,1]
	v_cmp_eq_u32_e32 vcc, 22, v0
	v_mul_f32_e64 v8, v20, -v8
	v_ashrrev_i32_e32 v5, 31, v4
	v_cndmask_b32_e32 v8, v8, v12, vcc
	v_lshlrev_b64 v[4:5], 1, v[4:5]
	v_cvt_f16_f32_e32 v12, v8
	v_mov_b32_e32 v9, s1
	v_add_co_u32_e32 v8, vcc, s0, v4
	v_addc_co_u32_e32 v9, vcc, v9, v5, vcc
	global_store_short v[10:11], v12, off
	v_mov_b32_e32 v10, s15
	v_add_co_u32_e32 v6, vcc, s14, v6
	v_addc_co_u32_e32 v7, vcc, v10, v7, vcc
	v_add_u32_e32 v10, 0x376d8, v1
	v_ashrrev_i32_e32 v11, 31, v10
	v_lshlrev_b64 v[12:13], 1, v[10:11]
	v_mov_b32_e32 v11, s1
	v_add_co_u32_e32 v10, vcc, s0, v12
	v_addc_co_u32_e32 v11, vcc, v11, v13, vcc
	global_load_ushort v31, v[8:9], off
	global_load_ushort v32, v[10:11], off
	v_add_u32_e32 v8, 0x398f4, v1
	v_ashrrev_i32_e32 v9, 31, v8
	v_lshlrev_b64 v[14:15], 1, v[8:9]
	v_mov_b32_e32 v8, s1
	v_add_co_u32_e32 v23, vcc, s0, v14
	v_addc_co_u32_e32 v24, vcc, v8, v15, vcc
	v_add_u32_e32 v8, 0x3bb10, v1
	v_ashrrev_i32_e32 v9, 31, v8
	v_lshlrev_b64 v[16:17], 1, v[8:9]
	v_mov_b32_e32 v8, s1
	v_add_co_u32_e32 v25, vcc, s0, v16
	v_addc_co_u32_e32 v26, vcc, v8, v17, vcc
	;; [unrolled: 6-line block ×3, first 2 shown]
	v_add_u32_e32 v8, 0x3ff48, v1
	v_ashrrev_i32_e32 v9, 31, v8
	v_lshlrev_b64 v[8:9], 1, v[8:9]
	s_waitcnt vmcnt(6)
	v_cvt_f32_f16_e32 v21, v21
	v_add_co_u32_e32 v29, vcc, s0, v8
	v_addc_co_u32_e32 v30, vcc, v30, v9, vcc
	global_load_ushort v33, v[23:24], off
	s_nop 0
	global_load_ushort v25, v[25:26], off
	s_nop 0
	global_load_ushort v24, v[27:28], off
	global_load_ushort v23, v[29:30], off
	v_mul_f32_e32 v21, 0x3fb8aa3b, v21
	v_exp_f32_e32 v21, v21
	v_cmp_eq_u32_e32 vcc, 23, v0
	v_mov_b32_e32 v30, s1
	v_cvt_f16_f32_e32 v21, v21
	v_cvt_f32_f16_e32 v26, v21
	v_fma_mix_f32 v21, -v19, v21, v18 op_sel_hi:[1,1,1]
	v_mul_f32_e64 v26, v20, -v26
	v_cndmask_b32_e32 v21, v26, v21, vcc
	v_cvt_f16_f32_e32 v21, v21
	v_add_co_u32_e32 v2, vcc, s14, v2
	global_store_short v[6:7], v21, off
	v_mov_b32_e32 v6, s15
	v_addc_co_u32_e32 v3, vcc, v6, v3, vcc
	s_waitcnt vmcnt(9)
	v_cvt_f32_f16_e32 v6, v22
	v_cmp_eq_u32_e32 vcc, 24, v0
	v_mul_f32_e32 v6, 0x3fb8aa3b, v6
	v_exp_f32_e32 v6, v6
	v_cvt_f16_f32_e32 v6, v6
	v_cvt_f32_f16_e32 v7, v6
	v_fma_mix_f32 v6, -v19, v6, v18 op_sel_hi:[1,1,1]
	v_mul_f32_e64 v7, v20, -v7
	v_cndmask_b32_e32 v6, v7, v6, vcc
	v_cvt_f16_f32_e32 v6, v6
	v_cmp_eq_u32_e32 vcc, 25, v0
	s_waitcnt vmcnt(6)
	v_cvt_f32_f16_e32 v7, v31
	global_store_short v[2:3], v6, off
	s_waitcnt vmcnt(6)
	v_cvt_f32_f16_e32 v3, v32
	v_mov_b32_e32 v6, s15
	v_mul_f32_e32 v7, 0x3fb8aa3b, v7
	v_exp_f32_e32 v7, v7
	v_mul_f32_e32 v3, 0x3fb8aa3b, v3
	v_exp_f32_e32 v3, v3
	v_cvt_f16_f32_e32 v7, v7
	v_cvt_f16_f32_e32 v21, v3
	v_cvt_f32_f16_e32 v2, v7
	v_fma_mix_f32 v7, -v19, v7, v18 op_sel_hi:[1,1,1]
	v_mul_f32_e64 v2, v20, -v2
	v_cndmask_b32_e32 v2, v2, v7, vcc
	v_cvt_f16_f32_e32 v7, v2
	v_add_co_u32_e32 v2, vcc, s14, v4
	v_cvt_f32_f16_e32 v4, v21
	v_addc_co_u32_e32 v3, vcc, v6, v5, vcc
	global_store_short v[2:3], v7, off
	v_fma_mix_f32 v2, -v19, v21, v18 op_sel_hi:[1,1,1]
	v_mul_f32_e64 v4, v20, -v4
	v_cmp_eq_u32_e32 vcc, 26, v0
	v_cndmask_b32_e32 v2, v4, v2, vcc
	v_cvt_f16_f32_e32 v4, v2
	s_waitcnt vmcnt(6)
	v_cvt_f32_f16_e32 v5, v33
	v_mov_b32_e32 v3, s15
	s_waitcnt vmcnt(5)
	v_cvt_f32_f16_e32 v6, v25
	v_mul_f32_e32 v2, 0x3fb8aa3b, v5
	v_exp_f32_e32 v5, v2
	v_add_co_u32_e32 v2, vcc, s14, v12
	v_addc_co_u32_e32 v3, vcc, v3, v13, vcc
	v_cvt_f16_f32_e32 v5, v5
	global_store_short v[2:3], v4, off
	v_mul_f32_e32 v4, 0x3fb8aa3b, v6
	v_cmp_eq_u32_e32 vcc, 27, v0
	v_cvt_f32_f16_e32 v2, v5
	v_fma_mix_f32 v5, -v19, v5, v18 op_sel_hi:[1,1,1]
	v_exp_f32_e32 v4, v4
	v_mov_b32_e32 v3, s15
	v_mul_f32_e64 v2, v20, -v2
	v_cndmask_b32_e32 v2, v2, v5, vcc
	v_cvt_f16_f32_e32 v5, v2
	v_add_co_u32_e32 v2, vcc, s14, v14
	v_addc_co_u32_e32 v3, vcc, v3, v15, vcc
	v_cvt_f16_f32_e32 v12, v4
	v_add_u32_e32 v4, 0x42164, v1
	global_store_short v[2:3], v5, off
	v_ashrrev_i32_e32 v5, 31, v4
	v_mov_b32_e32 v3, s15
	v_add_co_u32_e32 v2, vcc, s14, v16
	v_lshlrev_b64 v[6:7], 1, v[4:5]
	v_addc_co_u32_e32 v3, vcc, v3, v17, vcc
	v_mov_b32_e32 v5, s1
	v_add_co_u32_e32 v4, vcc, s0, v6
	v_addc_co_u32_e32 v5, vcc, v5, v7, vcc
	global_load_ushort v21, v[4:5], off
	v_cvt_f32_f16_e32 v13, v12
	s_waitcnt vmcnt(7)
	v_cvt_f32_f16_e32 v14, v24
	v_fma_mix_f32 v12, -v19, v12, v18 op_sel_hi:[1,1,1]
	v_cmp_eq_u32_e32 vcc, 28, v0
	v_mul_f32_e64 v13, v20, -v13
	v_mul_f32_e32 v4, 0x3fb8aa3b, v14
	v_cndmask_b32_e32 v12, v13, v12, vcc
	v_exp_f32_e32 v13, v4
	v_cvt_f16_f32_e32 v12, v12
	v_add_co_u32_e32 v4, vcc, s14, v10
	v_cvt_f16_f32_e32 v10, v13
	global_store_short v[2:3], v12, off
	s_waitcnt vmcnt(7)
	v_cvt_f32_f16_e32 v12, v23
	v_mov_b32_e32 v2, s15
	v_addc_co_u32_e32 v5, vcc, v2, v11, vcc
	v_cvt_f32_f16_e32 v11, v10
	v_add_u32_e32 v2, 0x44380, v1
	v_mul_f32_e32 v12, 0x3fb8aa3b, v12
	v_ashrrev_i32_e32 v3, 31, v2
	v_exp_f32_e32 v12, v12
	v_lshlrev_b64 v[2:3], 1, v[2:3]
	v_fma_mix_f32 v10, -v19, v10, v18 op_sel_hi:[1,1,1]
	v_mul_f32_e64 v11, v20, -v11
	v_cmp_eq_u32_e32 vcc, 29, v0
	v_cndmask_b32_e32 v10, v11, v10, vcc
	v_mov_b32_e32 v13, s1
	v_cvt_f16_f32_e32 v14, v10
	v_add_co_u32_e32 v10, vcc, s0, v2
	v_addc_co_u32_e32 v11, vcc, v13, v3, vcc
	v_cvt_f16_f32_e32 v12, v12
	global_load_ushort v22, v[10:11], off
	v_add_co_u32_e32 v10, vcc, s14, v8
	v_cvt_f32_f16_e32 v8, v12
	global_store_short v[4:5], v14, off
	v_mov_b32_e32 v4, s15
	v_addc_co_u32_e32 v11, vcc, v4, v9, vcc
	v_add_u32_e32 v4, 0x4659c, v1
	v_fma_mix_f32 v12, -v19, v12, v18 op_sel_hi:[1,1,1]
	v_mul_f32_e64 v8, v20, -v8
	v_cmp_eq_u32_e32 vcc, 30, v0
	v_ashrrev_i32_e32 v5, 31, v4
	v_cndmask_b32_e32 v8, v8, v12, vcc
	v_lshlrev_b64 v[4:5], 1, v[4:5]
	v_cvt_f16_f32_e32 v12, v8
	v_mov_b32_e32 v9, s1
	v_add_co_u32_e32 v8, vcc, s0, v4
	v_addc_co_u32_e32 v9, vcc, v9, v5, vcc
	global_store_short v[10:11], v12, off
	v_mov_b32_e32 v10, s15
	v_add_co_u32_e32 v6, vcc, s14, v6
	v_addc_co_u32_e32 v7, vcc, v10, v7, vcc
	v_add_u32_e32 v10, 0x487b8, v1
	v_ashrrev_i32_e32 v11, 31, v10
	v_lshlrev_b64 v[12:13], 1, v[10:11]
	v_mov_b32_e32 v11, s1
	v_add_co_u32_e32 v10, vcc, s0, v12
	v_addc_co_u32_e32 v11, vcc, v11, v13, vcc
	global_load_ushort v31, v[8:9], off
	global_load_ushort v32, v[10:11], off
	v_add_u32_e32 v8, 0x4a9d4, v1
	v_ashrrev_i32_e32 v9, 31, v8
	v_lshlrev_b64 v[14:15], 1, v[8:9]
	v_mov_b32_e32 v8, s1
	v_add_co_u32_e32 v23, vcc, s0, v14
	v_addc_co_u32_e32 v24, vcc, v8, v15, vcc
	v_add_u32_e32 v8, 0x4cbf0, v1
	v_ashrrev_i32_e32 v9, 31, v8
	v_lshlrev_b64 v[16:17], 1, v[8:9]
	v_mov_b32_e32 v8, s1
	v_add_co_u32_e32 v25, vcc, s0, v16
	v_addc_co_u32_e32 v26, vcc, v8, v17, vcc
	;; [unrolled: 6-line block ×3, first 2 shown]
	v_add_u32_e32 v8, 0x51028, v1
	v_ashrrev_i32_e32 v9, 31, v8
	v_lshlrev_b64 v[8:9], 1, v[8:9]
	s_waitcnt vmcnt(6)
	v_cvt_f32_f16_e32 v21, v21
	v_add_co_u32_e32 v29, vcc, s0, v8
	v_addc_co_u32_e32 v30, vcc, v30, v9, vcc
	global_load_ushort v33, v[23:24], off
	s_nop 0
	global_load_ushort v25, v[25:26], off
	s_nop 0
	global_load_ushort v24, v[27:28], off
	global_load_ushort v23, v[29:30], off
	v_mul_f32_e32 v21, 0x3fb8aa3b, v21
	v_exp_f32_e32 v21, v21
	v_cmp_eq_u32_e32 vcc, 31, v0
	v_mov_b32_e32 v30, s1
	v_cvt_f16_f32_e32 v21, v21
	v_cvt_f32_f16_e32 v26, v21
	v_fma_mix_f32 v21, -v19, v21, v18 op_sel_hi:[1,1,1]
	v_mul_f32_e64 v26, v20, -v26
	v_cndmask_b32_e32 v21, v26, v21, vcc
	v_cvt_f16_f32_e32 v21, v21
	v_add_co_u32_e32 v2, vcc, s14, v2
	global_store_short v[6:7], v21, off
	v_mov_b32_e32 v6, s15
	v_addc_co_u32_e32 v3, vcc, v6, v3, vcc
	s_waitcnt vmcnt(9)
	v_cvt_f32_f16_e32 v6, v22
	v_cmp_eq_u32_e32 vcc, 32, v0
	v_mul_f32_e32 v6, 0x3fb8aa3b, v6
	v_exp_f32_e32 v6, v6
	v_cvt_f16_f32_e32 v6, v6
	v_cvt_f32_f16_e32 v7, v6
	v_fma_mix_f32 v6, -v19, v6, v18 op_sel_hi:[1,1,1]
	v_mul_f32_e64 v7, v20, -v7
	v_cndmask_b32_e32 v6, v7, v6, vcc
	v_cvt_f16_f32_e32 v6, v6
	v_cmp_eq_u32_e32 vcc, 33, v0
	s_waitcnt vmcnt(6)
	v_cvt_f32_f16_e32 v7, v31
	global_store_short v[2:3], v6, off
	s_waitcnt vmcnt(6)
	v_cvt_f32_f16_e32 v3, v32
	v_mov_b32_e32 v6, s15
	v_mul_f32_e32 v7, 0x3fb8aa3b, v7
	v_exp_f32_e32 v7, v7
	v_mul_f32_e32 v3, 0x3fb8aa3b, v3
	v_exp_f32_e32 v3, v3
	v_cvt_f16_f32_e32 v7, v7
	v_cvt_f16_f32_e32 v21, v3
	v_cvt_f32_f16_e32 v2, v7
	v_fma_mix_f32 v7, -v19, v7, v18 op_sel_hi:[1,1,1]
	v_mul_f32_e64 v2, v20, -v2
	v_cndmask_b32_e32 v2, v2, v7, vcc
	v_cvt_f16_f32_e32 v7, v2
	v_add_co_u32_e32 v2, vcc, s14, v4
	v_cvt_f32_f16_e32 v4, v21
	v_addc_co_u32_e32 v3, vcc, v6, v5, vcc
	global_store_short v[2:3], v7, off
	v_fma_mix_f32 v2, -v19, v21, v18 op_sel_hi:[1,1,1]
	v_mul_f32_e64 v4, v20, -v4
	v_cmp_eq_u32_e32 vcc, 34, v0
	v_cndmask_b32_e32 v2, v4, v2, vcc
	v_cvt_f16_f32_e32 v4, v2
	s_waitcnt vmcnt(6)
	v_cvt_f32_f16_e32 v5, v33
	v_mov_b32_e32 v3, s15
	s_waitcnt vmcnt(5)
	v_cvt_f32_f16_e32 v6, v25
	v_mul_f32_e32 v2, 0x3fb8aa3b, v5
	v_exp_f32_e32 v5, v2
	v_add_co_u32_e32 v2, vcc, s14, v12
	v_addc_co_u32_e32 v3, vcc, v3, v13, vcc
	v_cvt_f16_f32_e32 v5, v5
	global_store_short v[2:3], v4, off
	v_mul_f32_e32 v4, 0x3fb8aa3b, v6
	v_cmp_eq_u32_e32 vcc, 35, v0
	v_cvt_f32_f16_e32 v2, v5
	v_fma_mix_f32 v5, -v19, v5, v18 op_sel_hi:[1,1,1]
	v_exp_f32_e32 v4, v4
	v_mov_b32_e32 v3, s15
	v_mul_f32_e64 v2, v20, -v2
	v_cndmask_b32_e32 v2, v2, v5, vcc
	v_cvt_f16_f32_e32 v5, v2
	v_add_co_u32_e32 v2, vcc, s14, v14
	v_addc_co_u32_e32 v3, vcc, v3, v15, vcc
	v_cvt_f16_f32_e32 v12, v4
	v_add_u32_e32 v4, 0x53244, v1
	global_store_short v[2:3], v5, off
	v_ashrrev_i32_e32 v5, 31, v4
	v_mov_b32_e32 v3, s15
	v_add_co_u32_e32 v2, vcc, s14, v16
	v_lshlrev_b64 v[6:7], 1, v[4:5]
	v_addc_co_u32_e32 v3, vcc, v3, v17, vcc
	v_mov_b32_e32 v5, s1
	v_add_co_u32_e32 v4, vcc, s0, v6
	v_cvt_f32_f16_e32 v13, v12
	v_addc_co_u32_e32 v5, vcc, v5, v7, vcc
	s_waitcnt vmcnt(6)
	v_cvt_f32_f16_e32 v14, v24
	global_load_ushort v21, v[4:5], off
	v_fma_mix_f32 v12, -v19, v12, v18 op_sel_hi:[1,1,1]
	v_mul_f32_e64 v13, v20, -v13
	v_cmp_eq_u32_e32 vcc, 36, v0
	v_cndmask_b32_e32 v12, v13, v12, vcc
	v_mul_f32_e32 v4, 0x3fb8aa3b, v14
	v_cvt_f16_f32_e32 v12, v12
	v_exp_f32_e32 v13, v4
	v_add_co_u32_e32 v4, vcc, s14, v10
	global_store_short v[2:3], v12, off
	v_cvt_f16_f32_e32 v12, v13
	v_mov_b32_e32 v2, s15
	v_addc_co_u32_e32 v5, vcc, v2, v11, vcc
	v_add_u32_e32 v2, 0x55460, v1
	v_ashrrev_i32_e32 v3, 31, v2
	v_lshlrev_b64 v[2:3], 1, v[2:3]
	v_cvt_f32_f16_e32 v13, v12
	s_waitcnt vmcnt(7)
	v_cvt_f32_f16_e32 v14, v23
	v_mov_b32_e32 v11, s1
	v_add_co_u32_e32 v10, vcc, s0, v2
	v_addc_co_u32_e32 v11, vcc, v11, v3, vcc
	v_fma_mix_f32 v12, -v19, v12, v18 op_sel_hi:[1,1,1]
	v_mul_f32_e64 v13, v20, -v13
	v_cmp_eq_u32_e32 vcc, 37, v0
	v_cndmask_b32_e32 v12, v13, v12, vcc
	v_mul_f32_e32 v13, 0x3fb8aa3b, v14
	v_cvt_f16_f32_e32 v12, v12
	v_exp_f32_e32 v13, v13
	global_load_ushort v22, v[10:11], off
	v_add_co_u32_e32 v10, vcc, s14, v8
	global_store_short v[4:5], v12, off
	v_cvt_f16_f32_e32 v12, v13
	v_mov_b32_e32 v4, s15
	v_addc_co_u32_e32 v11, vcc, v4, v9, vcc
	v_cvt_f32_f16_e32 v8, v12
	v_add_u32_e32 v4, 0x5767c, v1
	v_fma_mix_f32 v12, -v19, v12, v18 op_sel_hi:[1,1,1]
	v_cmp_eq_u32_e32 vcc, 38, v0
	v_mul_f32_e64 v8, v20, -v8
	v_ashrrev_i32_e32 v5, 31, v4
	v_cndmask_b32_e32 v8, v8, v12, vcc
	v_lshlrev_b64 v[4:5], 1, v[4:5]
	v_cvt_f16_f32_e32 v12, v8
	v_mov_b32_e32 v9, s1
	v_add_co_u32_e32 v8, vcc, s0, v4
	v_addc_co_u32_e32 v9, vcc, v9, v5, vcc
	global_store_short v[10:11], v12, off
	v_mov_b32_e32 v10, s15
	v_add_co_u32_e32 v6, vcc, s14, v6
	v_addc_co_u32_e32 v7, vcc, v10, v7, vcc
	v_add_u32_e32 v10, 0x59898, v1
	v_ashrrev_i32_e32 v11, 31, v10
	v_lshlrev_b64 v[12:13], 1, v[10:11]
	v_mov_b32_e32 v11, s1
	v_add_co_u32_e32 v10, vcc, s0, v12
	v_addc_co_u32_e32 v11, vcc, v11, v13, vcc
	global_load_ushort v31, v[8:9], off
	global_load_ushort v32, v[10:11], off
	v_add_u32_e32 v8, 0x5bab4, v1
	v_ashrrev_i32_e32 v9, 31, v8
	v_lshlrev_b64 v[14:15], 1, v[8:9]
	v_mov_b32_e32 v8, s1
	v_add_co_u32_e32 v23, vcc, s0, v14
	v_addc_co_u32_e32 v24, vcc, v8, v15, vcc
	v_add_u32_e32 v8, 0x5dcd0, v1
	v_ashrrev_i32_e32 v9, 31, v8
	v_lshlrev_b64 v[16:17], 1, v[8:9]
	v_mov_b32_e32 v8, s1
	v_add_co_u32_e32 v25, vcc, s0, v16
	v_addc_co_u32_e32 v26, vcc, v8, v17, vcc
	;; [unrolled: 6-line block ×3, first 2 shown]
	v_add_u32_e32 v8, 0x62108, v1
	v_ashrrev_i32_e32 v9, 31, v8
	v_lshlrev_b64 v[8:9], 1, v[8:9]
	s_waitcnt vmcnt(6)
	v_cvt_f32_f16_e32 v21, v21
	v_add_co_u32_e32 v29, vcc, s0, v8
	v_addc_co_u32_e32 v30, vcc, v30, v9, vcc
	global_load_ushort v33, v[23:24], off
	s_nop 0
	global_load_ushort v25, v[25:26], off
	s_nop 0
	global_load_ushort v24, v[27:28], off
	global_load_ushort v23, v[29:30], off
	v_mul_f32_e32 v21, 0x3fb8aa3b, v21
	v_exp_f32_e32 v21, v21
	v_cmp_eq_u32_e32 vcc, 39, v0
	v_mov_b32_e32 v30, s1
	v_cvt_f16_f32_e32 v21, v21
	v_cvt_f32_f16_e32 v26, v21
	v_fma_mix_f32 v21, -v19, v21, v18 op_sel_hi:[1,1,1]
	v_mul_f32_e64 v26, v20, -v26
	v_cndmask_b32_e32 v21, v26, v21, vcc
	v_cvt_f16_f32_e32 v21, v21
	v_add_co_u32_e32 v2, vcc, s14, v2
	global_store_short v[6:7], v21, off
	v_mov_b32_e32 v6, s15
	v_addc_co_u32_e32 v3, vcc, v6, v3, vcc
	s_waitcnt vmcnt(9)
	v_cvt_f32_f16_e32 v6, v22
	v_cmp_eq_u32_e32 vcc, 40, v0
	v_mul_f32_e32 v6, 0x3fb8aa3b, v6
	v_exp_f32_e32 v6, v6
	v_cvt_f16_f32_e32 v6, v6
	v_cvt_f32_f16_e32 v7, v6
	v_fma_mix_f32 v6, -v19, v6, v18 op_sel_hi:[1,1,1]
	v_mul_f32_e64 v7, v20, -v7
	v_cndmask_b32_e32 v6, v7, v6, vcc
	v_cvt_f16_f32_e32 v6, v6
	v_cmp_eq_u32_e32 vcc, 41, v0
	s_waitcnt vmcnt(6)
	v_cvt_f32_f16_e32 v7, v31
	global_store_short v[2:3], v6, off
	s_waitcnt vmcnt(6)
	v_cvt_f32_f16_e32 v3, v32
	v_mov_b32_e32 v6, s15
	v_mul_f32_e32 v7, 0x3fb8aa3b, v7
	v_exp_f32_e32 v7, v7
	v_mul_f32_e32 v3, 0x3fb8aa3b, v3
	v_exp_f32_e32 v3, v3
	v_cvt_f16_f32_e32 v7, v7
	v_cvt_f16_f32_e32 v21, v3
	v_cvt_f32_f16_e32 v2, v7
	v_fma_mix_f32 v7, -v19, v7, v18 op_sel_hi:[1,1,1]
	v_mul_f32_e64 v2, v20, -v2
	v_cndmask_b32_e32 v2, v2, v7, vcc
	v_cvt_f16_f32_e32 v7, v2
	v_add_co_u32_e32 v2, vcc, s14, v4
	v_cvt_f32_f16_e32 v4, v21
	v_addc_co_u32_e32 v3, vcc, v6, v5, vcc
	global_store_short v[2:3], v7, off
	v_fma_mix_f32 v2, -v19, v21, v18 op_sel_hi:[1,1,1]
	v_mul_f32_e64 v4, v20, -v4
	v_cmp_eq_u32_e32 vcc, 42, v0
	v_cndmask_b32_e32 v2, v4, v2, vcc
	v_cvt_f16_f32_e32 v4, v2
	s_waitcnt vmcnt(6)
	v_cvt_f32_f16_e32 v5, v33
	v_mov_b32_e32 v3, s15
	s_waitcnt vmcnt(5)
	v_cvt_f32_f16_e32 v6, v25
	v_mul_f32_e32 v2, 0x3fb8aa3b, v5
	v_exp_f32_e32 v5, v2
	v_add_co_u32_e32 v2, vcc, s14, v12
	v_addc_co_u32_e32 v3, vcc, v3, v13, vcc
	v_cvt_f16_f32_e32 v5, v5
	global_store_short v[2:3], v4, off
	v_mul_f32_e32 v4, 0x3fb8aa3b, v6
	v_cmp_eq_u32_e32 vcc, 43, v0
	v_cvt_f32_f16_e32 v2, v5
	v_fma_mix_f32 v5, -v19, v5, v18 op_sel_hi:[1,1,1]
	v_exp_f32_e32 v4, v4
	v_mov_b32_e32 v3, s15
	v_mul_f32_e64 v2, v20, -v2
	v_cndmask_b32_e32 v2, v2, v5, vcc
	v_cvt_f16_f32_e32 v5, v2
	v_add_co_u32_e32 v2, vcc, s14, v14
	v_addc_co_u32_e32 v3, vcc, v3, v15, vcc
	v_cvt_f16_f32_e32 v12, v4
	v_add_u32_e32 v4, 0x64324, v1
	global_store_short v[2:3], v5, off
	v_ashrrev_i32_e32 v5, 31, v4
	v_mov_b32_e32 v3, s15
	v_add_co_u32_e32 v2, vcc, s14, v16
	v_lshlrev_b64 v[6:7], 1, v[4:5]
	v_addc_co_u32_e32 v3, vcc, v3, v17, vcc
	v_mov_b32_e32 v5, s1
	v_add_co_u32_e32 v4, vcc, s0, v6
	v_addc_co_u32_e32 v5, vcc, v5, v7, vcc
	global_load_ushort v21, v[4:5], off
	v_cvt_f32_f16_e32 v13, v12
	s_waitcnt vmcnt(7)
	v_cvt_f32_f16_e32 v14, v24
	v_fma_mix_f32 v12, -v19, v12, v18 op_sel_hi:[1,1,1]
	v_cmp_eq_u32_e32 vcc, 44, v0
	v_mul_f32_e64 v13, v20, -v13
	v_mul_f32_e32 v4, 0x3fb8aa3b, v14
	v_cndmask_b32_e32 v12, v13, v12, vcc
	v_exp_f32_e32 v13, v4
	v_cvt_f16_f32_e32 v12, v12
	v_add_co_u32_e32 v4, vcc, s14, v10
	v_cvt_f16_f32_e32 v10, v13
	global_store_short v[2:3], v12, off
	s_waitcnt vmcnt(7)
	v_cvt_f32_f16_e32 v12, v23
	v_mov_b32_e32 v2, s15
	v_addc_co_u32_e32 v5, vcc, v2, v11, vcc
	v_cvt_f32_f16_e32 v11, v10
	v_add_u32_e32 v2, 0x66540, v1
	v_mul_f32_e32 v12, 0x3fb8aa3b, v12
	v_ashrrev_i32_e32 v3, 31, v2
	v_exp_f32_e32 v12, v12
	v_lshlrev_b64 v[2:3], 1, v[2:3]
	v_fma_mix_f32 v10, -v19, v10, v18 op_sel_hi:[1,1,1]
	v_mul_f32_e64 v11, v20, -v11
	v_cmp_eq_u32_e32 vcc, 45, v0
	v_cndmask_b32_e32 v10, v11, v10, vcc
	v_mov_b32_e32 v13, s1
	v_cvt_f16_f32_e32 v14, v10
	v_add_co_u32_e32 v10, vcc, s0, v2
	v_addc_co_u32_e32 v11, vcc, v13, v3, vcc
	v_cvt_f16_f32_e32 v12, v12
	global_load_ushort v22, v[10:11], off
	v_add_co_u32_e32 v10, vcc, s14, v8
	v_cvt_f32_f16_e32 v8, v12
	global_store_short v[4:5], v14, off
	v_mov_b32_e32 v4, s15
	v_addc_co_u32_e32 v11, vcc, v4, v9, vcc
	v_add_u32_e32 v4, 0x6875c, v1
	v_fma_mix_f32 v12, -v19, v12, v18 op_sel_hi:[1,1,1]
	v_mul_f32_e64 v8, v20, -v8
	v_cmp_eq_u32_e32 vcc, 46, v0
	v_ashrrev_i32_e32 v5, 31, v4
	v_cndmask_b32_e32 v8, v8, v12, vcc
	v_lshlrev_b64 v[4:5], 1, v[4:5]
	v_cvt_f16_f32_e32 v12, v8
	v_mov_b32_e32 v9, s1
	v_add_co_u32_e32 v8, vcc, s0, v4
	v_addc_co_u32_e32 v9, vcc, v9, v5, vcc
	global_store_short v[10:11], v12, off
	v_mov_b32_e32 v10, s15
	v_add_co_u32_e32 v6, vcc, s14, v6
	v_addc_co_u32_e32 v7, vcc, v10, v7, vcc
	v_add_u32_e32 v10, 0x6a978, v1
	v_ashrrev_i32_e32 v11, 31, v10
	v_lshlrev_b64 v[12:13], 1, v[10:11]
	v_mov_b32_e32 v11, s1
	v_add_co_u32_e32 v10, vcc, s0, v12
	v_addc_co_u32_e32 v11, vcc, v11, v13, vcc
	global_load_ushort v31, v[8:9], off
	global_load_ushort v32, v[10:11], off
	v_add_u32_e32 v8, 0x6cb94, v1
	v_ashrrev_i32_e32 v9, 31, v8
	v_lshlrev_b64 v[14:15], 1, v[8:9]
	v_mov_b32_e32 v8, s1
	v_add_co_u32_e32 v23, vcc, s0, v14
	v_addc_co_u32_e32 v24, vcc, v8, v15, vcc
	v_add_u32_e32 v8, 0x6edb0, v1
	v_ashrrev_i32_e32 v9, 31, v8
	v_lshlrev_b64 v[16:17], 1, v[8:9]
	v_mov_b32_e32 v8, s1
	v_add_co_u32_e32 v25, vcc, s0, v16
	v_addc_co_u32_e32 v26, vcc, v8, v17, vcc
	;; [unrolled: 6-line block ×3, first 2 shown]
	v_add_u32_e32 v8, 0x731e8, v1
	v_ashrrev_i32_e32 v9, 31, v8
	v_lshlrev_b64 v[8:9], 1, v[8:9]
	s_waitcnt vmcnt(6)
	v_cvt_f32_f16_e32 v21, v21
	v_add_co_u32_e32 v29, vcc, s0, v8
	v_addc_co_u32_e32 v30, vcc, v30, v9, vcc
	global_load_ushort v33, v[23:24], off
	s_nop 0
	global_load_ushort v25, v[25:26], off
	s_nop 0
	global_load_ushort v24, v[27:28], off
	global_load_ushort v23, v[29:30], off
	v_mul_f32_e32 v21, 0x3fb8aa3b, v21
	v_exp_f32_e32 v21, v21
	v_cmp_eq_u32_e32 vcc, 47, v0
	v_mov_b32_e32 v30, s1
	v_cvt_f16_f32_e32 v21, v21
	v_cvt_f32_f16_e32 v26, v21
	v_fma_mix_f32 v21, -v19, v21, v18 op_sel_hi:[1,1,1]
	v_mul_f32_e64 v26, v20, -v26
	v_cndmask_b32_e32 v21, v26, v21, vcc
	v_cvt_f16_f32_e32 v21, v21
	v_add_co_u32_e32 v2, vcc, s14, v2
	global_store_short v[6:7], v21, off
	v_mov_b32_e32 v6, s15
	v_addc_co_u32_e32 v3, vcc, v6, v3, vcc
	s_waitcnt vmcnt(9)
	v_cvt_f32_f16_e32 v6, v22
	v_cmp_eq_u32_e32 vcc, 48, v0
	v_mul_f32_e32 v6, 0x3fb8aa3b, v6
	v_exp_f32_e32 v6, v6
	v_cvt_f16_f32_e32 v6, v6
	v_cvt_f32_f16_e32 v7, v6
	v_fma_mix_f32 v6, -v19, v6, v18 op_sel_hi:[1,1,1]
	v_mul_f32_e64 v7, v20, -v7
	v_cndmask_b32_e32 v6, v7, v6, vcc
	v_cvt_f16_f32_e32 v6, v6
	v_cmp_eq_u32_e32 vcc, 49, v0
	s_waitcnt vmcnt(6)
	v_cvt_f32_f16_e32 v7, v31
	global_store_short v[2:3], v6, off
	s_waitcnt vmcnt(6)
	v_cvt_f32_f16_e32 v3, v32
	v_mov_b32_e32 v6, s15
	v_mul_f32_e32 v7, 0x3fb8aa3b, v7
	v_exp_f32_e32 v7, v7
	v_mul_f32_e32 v3, 0x3fb8aa3b, v3
	v_exp_f32_e32 v3, v3
	v_cvt_f16_f32_e32 v7, v7
	v_cvt_f16_f32_e32 v21, v3
	v_cvt_f32_f16_e32 v2, v7
	v_fma_mix_f32 v7, -v19, v7, v18 op_sel_hi:[1,1,1]
	v_mul_f32_e64 v2, v20, -v2
	v_cndmask_b32_e32 v2, v2, v7, vcc
	v_cvt_f16_f32_e32 v7, v2
	v_add_co_u32_e32 v2, vcc, s14, v4
	v_cvt_f32_f16_e32 v4, v21
	v_addc_co_u32_e32 v3, vcc, v6, v5, vcc
	global_store_short v[2:3], v7, off
	v_fma_mix_f32 v2, -v19, v21, v18 op_sel_hi:[1,1,1]
	v_mul_f32_e64 v4, v20, -v4
	v_cmp_eq_u32_e32 vcc, 50, v0
	v_cndmask_b32_e32 v2, v4, v2, vcc
	v_cvt_f16_f32_e32 v4, v2
	s_waitcnt vmcnt(6)
	v_cvt_f32_f16_e32 v5, v33
	v_mov_b32_e32 v3, s15
	s_waitcnt vmcnt(5)
	v_cvt_f32_f16_e32 v6, v25
	v_mul_f32_e32 v2, 0x3fb8aa3b, v5
	v_exp_f32_e32 v5, v2
	v_add_co_u32_e32 v2, vcc, s14, v12
	v_addc_co_u32_e32 v3, vcc, v3, v13, vcc
	v_cvt_f16_f32_e32 v5, v5
	global_store_short v[2:3], v4, off
	v_mul_f32_e32 v4, 0x3fb8aa3b, v6
	v_cmp_eq_u32_e32 vcc, 51, v0
	v_cvt_f32_f16_e32 v2, v5
	v_fma_mix_f32 v5, -v19, v5, v18 op_sel_hi:[1,1,1]
	v_exp_f32_e32 v4, v4
	v_mov_b32_e32 v3, s15
	v_mul_f32_e64 v2, v20, -v2
	v_cndmask_b32_e32 v2, v2, v5, vcc
	v_cvt_f16_f32_e32 v5, v2
	v_add_co_u32_e32 v2, vcc, s14, v14
	v_addc_co_u32_e32 v3, vcc, v3, v15, vcc
	v_cvt_f16_f32_e32 v12, v4
	v_add_u32_e32 v4, 0x75404, v1
	global_store_short v[2:3], v5, off
	v_ashrrev_i32_e32 v5, 31, v4
	v_mov_b32_e32 v3, s15
	v_add_co_u32_e32 v2, vcc, s14, v16
	v_lshlrev_b64 v[6:7], 1, v[4:5]
	v_addc_co_u32_e32 v3, vcc, v3, v17, vcc
	v_mov_b32_e32 v5, s1
	v_add_co_u32_e32 v4, vcc, s0, v6
	v_cvt_f32_f16_e32 v13, v12
	v_addc_co_u32_e32 v5, vcc, v5, v7, vcc
	s_waitcnt vmcnt(6)
	v_cvt_f32_f16_e32 v14, v24
	global_load_ushort v21, v[4:5], off
	v_fma_mix_f32 v12, -v19, v12, v18 op_sel_hi:[1,1,1]
	v_mul_f32_e64 v13, v20, -v13
	v_cmp_eq_u32_e32 vcc, 52, v0
	v_cndmask_b32_e32 v12, v13, v12, vcc
	v_mul_f32_e32 v4, 0x3fb8aa3b, v14
	v_cvt_f16_f32_e32 v12, v12
	v_exp_f32_e32 v13, v4
	v_add_co_u32_e32 v4, vcc, s14, v10
	global_store_short v[2:3], v12, off
	v_cvt_f16_f32_e32 v12, v13
	v_mov_b32_e32 v2, s15
	v_addc_co_u32_e32 v5, vcc, v2, v11, vcc
	v_add_u32_e32 v2, 0x77620, v1
	v_ashrrev_i32_e32 v3, 31, v2
	v_lshlrev_b64 v[2:3], 1, v[2:3]
	v_cvt_f32_f16_e32 v13, v12
	s_waitcnt vmcnt(7)
	v_cvt_f32_f16_e32 v14, v23
	v_mov_b32_e32 v11, s1
	v_add_co_u32_e32 v10, vcc, s0, v2
	v_addc_co_u32_e32 v11, vcc, v11, v3, vcc
	v_fma_mix_f32 v12, -v19, v12, v18 op_sel_hi:[1,1,1]
	v_mul_f32_e64 v13, v20, -v13
	v_cmp_eq_u32_e32 vcc, 53, v0
	v_cndmask_b32_e32 v12, v13, v12, vcc
	v_mul_f32_e32 v13, 0x3fb8aa3b, v14
	v_cvt_f16_f32_e32 v12, v12
	v_exp_f32_e32 v13, v13
	global_load_ushort v22, v[10:11], off
	v_add_co_u32_e32 v10, vcc, s14, v8
	global_store_short v[4:5], v12, off
	v_cvt_f16_f32_e32 v12, v13
	v_mov_b32_e32 v4, s15
	v_addc_co_u32_e32 v11, vcc, v4, v9, vcc
	v_cvt_f32_f16_e32 v8, v12
	v_add_u32_e32 v4, 0x7983c, v1
	v_fma_mix_f32 v12, -v19, v12, v18 op_sel_hi:[1,1,1]
	v_cmp_eq_u32_e32 vcc, 54, v0
	v_mul_f32_e64 v8, v20, -v8
	v_ashrrev_i32_e32 v5, 31, v4
	v_cndmask_b32_e32 v8, v8, v12, vcc
	v_lshlrev_b64 v[4:5], 1, v[4:5]
	v_cvt_f16_f32_e32 v12, v8
	v_mov_b32_e32 v9, s1
	v_add_co_u32_e32 v8, vcc, s0, v4
	v_addc_co_u32_e32 v9, vcc, v9, v5, vcc
	global_store_short v[10:11], v12, off
	v_mov_b32_e32 v10, s15
	v_add_co_u32_e32 v6, vcc, s14, v6
	v_addc_co_u32_e32 v7, vcc, v10, v7, vcc
	v_add_u32_e32 v10, 0x7ba58, v1
	v_ashrrev_i32_e32 v11, 31, v10
	v_lshlrev_b64 v[12:13], 1, v[10:11]
	v_mov_b32_e32 v11, s1
	v_add_co_u32_e32 v10, vcc, s0, v12
	v_addc_co_u32_e32 v11, vcc, v11, v13, vcc
	global_load_ushort v31, v[8:9], off
	global_load_ushort v32, v[10:11], off
	v_add_u32_e32 v8, 0x7dc74, v1
	v_ashrrev_i32_e32 v9, 31, v8
	v_lshlrev_b64 v[14:15], 1, v[8:9]
	v_mov_b32_e32 v8, s1
	v_add_co_u32_e32 v23, vcc, s0, v14
	v_addc_co_u32_e32 v24, vcc, v8, v15, vcc
	v_add_u32_e32 v8, 0x7fe90, v1
	v_ashrrev_i32_e32 v9, 31, v8
	v_lshlrev_b64 v[16:17], 1, v[8:9]
	v_mov_b32_e32 v8, s1
	v_add_co_u32_e32 v25, vcc, s0, v16
	v_addc_co_u32_e32 v26, vcc, v8, v17, vcc
	;; [unrolled: 6-line block ×3, first 2 shown]
	v_add_u32_e32 v8, 0x842c8, v1
	v_ashrrev_i32_e32 v9, 31, v8
	v_lshlrev_b64 v[8:9], 1, v[8:9]
	s_waitcnt vmcnt(6)
	v_cvt_f32_f16_e32 v21, v21
	v_add_co_u32_e32 v29, vcc, s0, v8
	v_addc_co_u32_e32 v30, vcc, v30, v9, vcc
	global_load_ushort v33, v[23:24], off
	s_nop 0
	global_load_ushort v25, v[25:26], off
	s_nop 0
	global_load_ushort v24, v[27:28], off
	global_load_ushort v23, v[29:30], off
	v_mul_f32_e32 v21, 0x3fb8aa3b, v21
	v_exp_f32_e32 v21, v21
	v_cmp_eq_u32_e32 vcc, 55, v0
	v_mov_b32_e32 v30, s1
	v_cvt_f16_f32_e32 v21, v21
	v_cvt_f32_f16_e32 v26, v21
	v_fma_mix_f32 v21, -v19, v21, v18 op_sel_hi:[1,1,1]
	v_mul_f32_e64 v26, v20, -v26
	v_cndmask_b32_e32 v21, v26, v21, vcc
	v_cvt_f16_f32_e32 v21, v21
	v_add_co_u32_e32 v2, vcc, s14, v2
	global_store_short v[6:7], v21, off
	v_mov_b32_e32 v6, s15
	v_addc_co_u32_e32 v3, vcc, v6, v3, vcc
	s_waitcnt vmcnt(9)
	v_cvt_f32_f16_e32 v6, v22
	v_cmp_eq_u32_e32 vcc, 56, v0
	v_mul_f32_e32 v6, 0x3fb8aa3b, v6
	v_exp_f32_e32 v6, v6
	v_cvt_f16_f32_e32 v6, v6
	v_cvt_f32_f16_e32 v7, v6
	v_fma_mix_f32 v6, -v19, v6, v18 op_sel_hi:[1,1,1]
	v_mul_f32_e64 v7, v20, -v7
	v_cndmask_b32_e32 v6, v7, v6, vcc
	v_cvt_f16_f32_e32 v6, v6
	v_cmp_eq_u32_e32 vcc, 57, v0
	s_waitcnt vmcnt(6)
	v_cvt_f32_f16_e32 v7, v31
	global_store_short v[2:3], v6, off
	s_waitcnt vmcnt(6)
	v_cvt_f32_f16_e32 v3, v32
	v_mov_b32_e32 v6, s15
	v_mul_f32_e32 v7, 0x3fb8aa3b, v7
	v_exp_f32_e32 v7, v7
	v_mul_f32_e32 v3, 0x3fb8aa3b, v3
	v_exp_f32_e32 v3, v3
	v_cvt_f16_f32_e32 v7, v7
	v_cvt_f16_f32_e32 v21, v3
	v_cvt_f32_f16_e32 v2, v7
	v_fma_mix_f32 v7, -v19, v7, v18 op_sel_hi:[1,1,1]
	v_mul_f32_e64 v2, v20, -v2
	v_cndmask_b32_e32 v2, v2, v7, vcc
	v_cvt_f16_f32_e32 v7, v2
	v_add_co_u32_e32 v2, vcc, s14, v4
	v_cvt_f32_f16_e32 v4, v21
	v_addc_co_u32_e32 v3, vcc, v6, v5, vcc
	global_store_short v[2:3], v7, off
	v_fma_mix_f32 v2, -v19, v21, v18 op_sel_hi:[1,1,1]
	v_mul_f32_e64 v4, v20, -v4
	v_cmp_eq_u32_e32 vcc, 58, v0
	v_cndmask_b32_e32 v2, v4, v2, vcc
	v_cvt_f16_f32_e32 v4, v2
	s_waitcnt vmcnt(6)
	v_cvt_f32_f16_e32 v5, v33
	v_mov_b32_e32 v3, s15
	s_waitcnt vmcnt(5)
	v_cvt_f32_f16_e32 v6, v25
	v_mul_f32_e32 v2, 0x3fb8aa3b, v5
	v_exp_f32_e32 v5, v2
	v_add_co_u32_e32 v2, vcc, s14, v12
	v_addc_co_u32_e32 v3, vcc, v3, v13, vcc
	v_cvt_f16_f32_e32 v5, v5
	global_store_short v[2:3], v4, off
	v_mul_f32_e32 v4, 0x3fb8aa3b, v6
	v_cmp_eq_u32_e32 vcc, 59, v0
	v_cvt_f32_f16_e32 v2, v5
	v_fma_mix_f32 v5, -v19, v5, v18 op_sel_hi:[1,1,1]
	v_exp_f32_e32 v4, v4
	v_mov_b32_e32 v3, s15
	v_mul_f32_e64 v2, v20, -v2
	v_cndmask_b32_e32 v2, v2, v5, vcc
	v_cvt_f16_f32_e32 v5, v2
	v_add_co_u32_e32 v2, vcc, s14, v14
	v_addc_co_u32_e32 v3, vcc, v3, v15, vcc
	v_cvt_f16_f32_e32 v12, v4
	v_add_u32_e32 v4, 0x864e4, v1
	global_store_short v[2:3], v5, off
	v_ashrrev_i32_e32 v5, 31, v4
	v_mov_b32_e32 v3, s15
	v_add_co_u32_e32 v2, vcc, s14, v16
	v_lshlrev_b64 v[6:7], 1, v[4:5]
	v_addc_co_u32_e32 v3, vcc, v3, v17, vcc
	v_mov_b32_e32 v5, s1
	v_add_co_u32_e32 v4, vcc, s0, v6
	v_cvt_f32_f16_e32 v13, v12
	v_addc_co_u32_e32 v5, vcc, v5, v7, vcc
	s_waitcnt vmcnt(6)
	v_cvt_f32_f16_e32 v14, v24
	global_load_ushort v21, v[4:5], off
	v_fma_mix_f32 v12, -v19, v12, v18 op_sel_hi:[1,1,1]
	v_mul_f32_e64 v13, v20, -v13
	v_cmp_eq_u32_e32 vcc, 60, v0
	v_cndmask_b32_e32 v12, v13, v12, vcc
	v_mul_f32_e32 v4, 0x3fb8aa3b, v14
	v_cvt_f16_f32_e32 v12, v12
	v_exp_f32_e32 v13, v4
	v_add_co_u32_e32 v4, vcc, s14, v10
	global_store_short v[2:3], v12, off
	v_cvt_f16_f32_e32 v12, v13
	v_mov_b32_e32 v2, s15
	v_addc_co_u32_e32 v5, vcc, v2, v11, vcc
	v_add_u32_e32 v2, 0x88700, v1
	v_ashrrev_i32_e32 v3, 31, v2
	v_lshlrev_b64 v[2:3], 1, v[2:3]
	v_cvt_f32_f16_e32 v13, v12
	s_waitcnt vmcnt(7)
	v_cvt_f32_f16_e32 v14, v23
	v_mov_b32_e32 v11, s1
	v_add_co_u32_e32 v10, vcc, s0, v2
	v_addc_co_u32_e32 v11, vcc, v11, v3, vcc
	v_fma_mix_f32 v12, -v19, v12, v18 op_sel_hi:[1,1,1]
	v_mul_f32_e64 v13, v20, -v13
	v_cmp_eq_u32_e32 vcc, 61, v0
	v_cndmask_b32_e32 v12, v13, v12, vcc
	v_mul_f32_e32 v13, 0x3fb8aa3b, v14
	v_cvt_f16_f32_e32 v12, v12
	v_exp_f32_e32 v13, v13
	global_load_ushort v22, v[10:11], off
	v_add_co_u32_e32 v10, vcc, s14, v8
	global_store_short v[4:5], v12, off
	v_cvt_f16_f32_e32 v12, v13
	v_mov_b32_e32 v4, s15
	v_addc_co_u32_e32 v11, vcc, v4, v9, vcc
	v_cvt_f32_f16_e32 v8, v12
	v_add_u32_e32 v4, 0x8a91c, v1
	v_fma_mix_f32 v12, -v19, v12, v18 op_sel_hi:[1,1,1]
	v_cmp_eq_u32_e32 vcc, 62, v0
	v_mul_f32_e64 v8, v20, -v8
	v_ashrrev_i32_e32 v5, 31, v4
	v_cndmask_b32_e32 v8, v8, v12, vcc
	v_lshlrev_b64 v[4:5], 1, v[4:5]
	v_cvt_f16_f32_e32 v12, v8
	v_mov_b32_e32 v9, s1
	v_add_co_u32_e32 v8, vcc, s0, v4
	v_addc_co_u32_e32 v9, vcc, v9, v5, vcc
	global_store_short v[10:11], v12, off
	v_mov_b32_e32 v10, s15
	v_add_co_u32_e32 v6, vcc, s14, v6
	v_addc_co_u32_e32 v7, vcc, v10, v7, vcc
	v_add_u32_e32 v10, 0x8cb38, v1
	v_ashrrev_i32_e32 v11, 31, v10
	v_lshlrev_b64 v[12:13], 1, v[10:11]
	v_mov_b32_e32 v11, s1
	v_add_co_u32_e32 v10, vcc, s0, v12
	v_addc_co_u32_e32 v11, vcc, v11, v13, vcc
	global_load_ushort v31, v[8:9], off
	global_load_ushort v32, v[10:11], off
	v_add_u32_e32 v8, 0x8ed54, v1
	v_ashrrev_i32_e32 v9, 31, v8
	v_lshlrev_b64 v[14:15], 1, v[8:9]
	v_mov_b32_e32 v8, s1
	v_add_co_u32_e32 v23, vcc, s0, v14
	v_addc_co_u32_e32 v24, vcc, v8, v15, vcc
	v_add_u32_e32 v8, 0x90f70, v1
	v_ashrrev_i32_e32 v9, 31, v8
	v_lshlrev_b64 v[16:17], 1, v[8:9]
	v_mov_b32_e32 v8, s1
	v_add_co_u32_e32 v25, vcc, s0, v16
	v_addc_co_u32_e32 v26, vcc, v8, v17, vcc
	;; [unrolled: 6-line block ×3, first 2 shown]
	v_add_u32_e32 v8, 0x953a8, v1
	v_ashrrev_i32_e32 v9, 31, v8
	v_lshlrev_b64 v[8:9], 1, v[8:9]
	s_waitcnt vmcnt(6)
	v_cvt_f32_f16_e32 v21, v21
	v_add_co_u32_e32 v29, vcc, s0, v8
	v_addc_co_u32_e32 v30, vcc, v30, v9, vcc
	global_load_ushort v33, v[23:24], off
	s_nop 0
	global_load_ushort v25, v[25:26], off
	s_nop 0
	global_load_ushort v24, v[27:28], off
	global_load_ushort v23, v[29:30], off
	v_mul_f32_e32 v21, 0x3fb8aa3b, v21
	v_exp_f32_e32 v21, v21
	v_cmp_eq_u32_e32 vcc, 63, v0
	v_cvt_f16_f32_e32 v21, v21
	v_cvt_f32_f16_e32 v26, v21
	v_fma_mix_f32 v21, -v19, v21, v18 op_sel_hi:[1,1,1]
	v_mul_f32_e64 v26, v20, -v26
	v_cndmask_b32_e32 v21, v26, v21, vcc
	v_cvt_f16_f32_e32 v21, v21
	v_add_co_u32_e32 v2, vcc, s14, v2
	global_store_short v[6:7], v21, off
	v_mov_b32_e32 v6, s15
	v_addc_co_u32_e32 v3, vcc, v6, v3, vcc
	s_waitcnt vmcnt(9)
	v_cvt_f32_f16_e32 v6, v22
	v_cmp_eq_u32_e32 vcc, 64, v0
	v_mul_f32_e32 v6, 0x3fb8aa3b, v6
	v_exp_f32_e32 v6, v6
	v_cvt_f16_f32_e32 v6, v6
	v_cvt_f32_f16_e32 v7, v6
	v_fma_mix_f32 v6, -v19, v6, v18 op_sel_hi:[1,1,1]
	v_mul_f32_e64 v7, v20, -v7
	v_cndmask_b32_e32 v6, v7, v6, vcc
	v_cvt_f16_f32_e32 v6, v6
	v_cmp_eq_u32_e32 vcc, s2, v0
	s_movk_i32 s2, 0x42
	s_waitcnt vmcnt(6)
	v_cvt_f32_f16_e32 v7, v31
	global_store_short v[2:3], v6, off
	s_waitcnt vmcnt(6)
	v_cvt_f32_f16_e32 v6, v32
	v_mov_b32_e32 v3, s15
	v_mul_f32_e32 v7, 0x3fb8aa3b, v7
	v_exp_f32_e32 v7, v7
	v_mul_f32_e32 v6, 0x3fb8aa3b, v6
	v_exp_f32_e32 v6, v6
	v_mov_b32_e32 v32, s1
	v_cvt_f16_f32_e32 v7, v7
	v_cvt_f16_f32_e32 v6, v6
	v_cvt_f32_f16_e32 v2, v7
	v_fma_mix_f32 v7, -v19, v7, v18 op_sel_hi:[1,1,1]
	v_mul_f32_e64 v2, v20, -v2
	v_cndmask_b32_e32 v2, v2, v7, vcc
	v_cvt_f16_f32_e32 v7, v2
	v_add_co_u32_e32 v2, vcc, s14, v4
	v_addc_co_u32_e32 v3, vcc, v3, v5, vcc
	global_store_short v[2:3], v7, off
	v_cvt_f32_f16_e32 v2, v6
	v_fma_mix_f32 v5, -v19, v6, v18 op_sel_hi:[1,1,1]
	v_cmp_eq_u32_e32 vcc, s2, v0
	v_mov_b32_e32 v3, s15
	v_mul_f32_e64 v2, v20, -v2
	v_cndmask_b32_e32 v2, v2, v5, vcc
	s_waitcnt vmcnt(6)
	v_cvt_f32_f16_e32 v4, v33
	v_cvt_f16_f32_e32 v5, v2
	v_add_co_u32_e32 v2, vcc, s14, v12
	v_mul_f32_e32 v4, 0x3fb8aa3b, v4
	v_exp_f32_e32 v4, v4
	v_addc_co_u32_e32 v3, vcc, v3, v13, vcc
	global_store_short v[2:3], v5, off
	v_cvt_f16_f32_e32 v4, v4
	s_waitcnt vmcnt(6)
	v_cvt_f32_f16_e32 v5, v25
	s_movk_i32 s2, 0x43
	v_cmp_eq_u32_e32 vcc, s2, v0
	v_cvt_f32_f16_e32 v2, v4
	v_mul_f32_e32 v5, 0x3fb8aa3b, v5
	v_fma_mix_f32 v4, -v19, v4, v18 op_sel_hi:[1,1,1]
	v_exp_f32_e32 v5, v5
	v_mul_f32_e64 v2, v20, -v2
	v_cndmask_b32_e32 v2, v2, v4, vcc
	v_cvt_f16_f32_e32 v4, v2
	v_mov_b32_e32 v3, s15
	v_add_co_u32_e32 v2, vcc, s14, v14
	v_cvt_f16_f32_e32 v12, v5
	v_addc_co_u32_e32 v3, vcc, v3, v15, vcc
	global_store_short v[2:3], v4, off
	v_add_u32_e32 v4, 0x975c4, v1
	v_ashrrev_i32_e32 v5, 31, v4
	v_lshlrev_b64 v[6:7], 1, v[4:5]
	v_cvt_f32_f16_e32 v4, v12
	v_mov_b32_e32 v3, s15
	v_add_co_u32_e32 v2, vcc, s14, v16
	v_addc_co_u32_e32 v3, vcc, v3, v17, vcc
	s_waitcnt vmcnt(6)
	v_cvt_f32_f16_e32 v13, v24
	s_movk_i32 s2, 0x44
	v_fma_mix_f32 v12, -v19, v12, v18 op_sel_hi:[1,1,1]
	v_mul_f32_e64 v4, v20, -v4
	v_cmp_eq_u32_e32 vcc, s2, v0
	v_cndmask_b32_e32 v4, v4, v12, vcc
	v_mov_b32_e32 v5, s1
	v_cvt_f16_f32_e32 v12, v4
	v_add_co_u32_e32 v4, vcc, s0, v6
	v_mul_f32_e32 v13, 0x3fb8aa3b, v13
	v_addc_co_u32_e32 v5, vcc, v5, v7, vcc
	v_exp_f32_e32 v13, v13
	global_load_ushort v21, v[4:5], off
	v_add_co_u32_e32 v4, vcc, s14, v10
	v_cvt_f16_f32_e32 v13, v13
	global_store_short v[2:3], v12, off
	v_mov_b32_e32 v2, s15
	v_addc_co_u32_e32 v5, vcc, v2, v11, vcc
	v_cvt_f32_f16_e32 v10, v13
	s_movk_i32 s2, 0x45
	v_fma_mix_f32 v12, -v19, v13, v18 op_sel_hi:[1,1,1]
	v_cmp_eq_u32_e32 vcc, s2, v0
	v_mul_f32_e64 v10, v20, -v10
	v_cndmask_b32_e32 v10, v10, v12, vcc
	v_cvt_f16_f32_e32 v12, v10
	s_waitcnt vmcnt(7)
	v_cvt_f32_f16_e32 v13, v23
	v_add_u32_e32 v2, 0x997e0, v1
	v_ashrrev_i32_e32 v3, 31, v2
	global_store_short v[4:5], v12, off
	v_mul_f32_e32 v5, 0x3fb8aa3b, v13
	v_lshlrev_b64 v[2:3], 1, v[2:3]
	v_exp_f32_e32 v5, v5
	v_mov_b32_e32 v11, s1
	v_add_co_u32_e32 v10, vcc, s0, v2
	v_addc_co_u32_e32 v11, vcc, v11, v3, vcc
	global_load_ushort v22, v[10:11], off
	v_add_co_u32_e32 v10, vcc, s14, v8
	v_cvt_f16_f32_e32 v8, v5
	v_mov_b32_e32 v4, s15
	v_addc_co_u32_e32 v11, vcc, v4, v9, vcc
	v_cvt_f32_f16_e32 v9, v8
	s_movk_i32 s2, 0x46
	v_add_u32_e32 v4, 0x9b9fc, v1
	v_fma_mix_f32 v8, -v19, v8, v18 op_sel_hi:[1,1,1]
	v_mul_f32_e64 v9, v20, -v9
	v_cmp_eq_u32_e32 vcc, s2, v0
	v_ashrrev_i32_e32 v5, 31, v4
	v_cndmask_b32_e32 v8, v9, v8, vcc
	v_lshlrev_b64 v[4:5], 1, v[4:5]
	v_cvt_f16_f32_e32 v13, v8
	v_mov_b32_e32 v12, s1
	v_add_co_u32_e32 v8, vcc, s0, v4
	v_addc_co_u32_e32 v9, vcc, v12, v5, vcc
	global_store_short v[10:11], v13, off
	v_mov_b32_e32 v10, s15
	v_add_co_u32_e32 v6, vcc, s14, v6
	v_addc_co_u32_e32 v7, vcc, v10, v7, vcc
	v_add_u32_e32 v10, 0x9dc18, v1
	v_ashrrev_i32_e32 v11, 31, v10
	v_lshlrev_b64 v[16:17], 1, v[10:11]
	v_mov_b32_e32 v11, s1
	v_add_co_u32_e32 v10, vcc, s0, v16
	v_addc_co_u32_e32 v11, vcc, v11, v17, vcc
	global_load_ushort v26, v[8:9], off
	global_load_ushort v25, v[10:11], off
	v_add_u32_e32 v8, 0x9fe34, v1
	v_ashrrev_i32_e32 v9, 31, v8
	v_lshlrev_b64 v[8:9], 1, v[8:9]
	v_mov_b32_e32 v10, s1
	v_add_co_u32_e32 v23, vcc, s0, v8
	v_addc_co_u32_e32 v24, vcc, v10, v9, vcc
	v_add_u32_e32 v10, 0xa2050, v1
	v_ashrrev_i32_e32 v11, 31, v10
	v_lshlrev_b64 v[10:11], 1, v[10:11]
	v_mov_b32_e32 v14, s1
	v_add_co_u32_e32 v27, vcc, s0, v10
	v_addc_co_u32_e32 v28, vcc, v12, v11, vcc
	s_waitcnt vmcnt(6)
	v_cvt_f32_f16_e32 v21, v21
	v_add_u32_e32 v12, 0xa426c, v1
	v_ashrrev_i32_e32 v13, 31, v12
	v_lshlrev_b64 v[12:13], 1, v[12:13]
	v_mul_f32_e32 v21, 0x3fb8aa3b, v21
	v_exp_f32_e32 v21, v21
	v_add_co_u32_e32 v29, vcc, s0, v12
	v_addc_co_u32_e32 v30, vcc, v14, v13, vcc
	v_add_u32_e32 v14, 0xa6488, v1
	v_ashrrev_i32_e32 v15, 31, v14
	v_cvt_f16_f32_e32 v21, v21
	v_lshlrev_b64 v[14:15], 1, v[14:15]
	s_movk_i32 s2, 0x47
	v_add_co_u32_e32 v31, vcc, s0, v14
	v_addc_co_u32_e32 v32, vcc, v32, v15, vcc
	global_load_ushort v33, v[23:24], off
	s_nop 0
	global_load_ushort v27, v[27:28], off
	s_nop 0
	global_load_ushort v24, v[29:30], off
	global_load_ushort v23, v[31:32], off
	v_cvt_f32_f16_e32 v28, v21
	v_fma_mix_f32 v21, -v19, v21, v18 op_sel_hi:[1,1,1]
	v_cmp_eq_u32_e32 vcc, s2, v0
	s_movk_i32 s2, 0x48
	v_mul_f32_e64 v28, v20, -v28
	v_cndmask_b32_e32 v21, v28, v21, vcc
	v_cvt_f16_f32_e32 v21, v21
	v_add_co_u32_e32 v2, vcc, s14, v2
	global_store_short v[6:7], v21, off
	v_mov_b32_e32 v6, s15
	v_addc_co_u32_e32 v3, vcc, v6, v3, vcc
	s_waitcnt vmcnt(8)
	v_cvt_f32_f16_e32 v6, v22
	v_cmp_eq_u32_e32 vcc, s2, v0
	s_movk_i32 s2, 0x49
	v_mul_f32_e32 v6, 0x3fb8aa3b, v6
	v_exp_f32_e32 v6, v6
	v_cvt_f16_f32_e32 v6, v6
	v_cvt_f32_f16_e32 v7, v6
	v_fma_mix_f32 v6, -v19, v6, v18 op_sel_hi:[1,1,1]
	v_mul_f32_e64 v7, v20, -v7
	v_cndmask_b32_e32 v6, v7, v6, vcc
	v_cvt_f16_f32_e32 v6, v6
	v_cmp_eq_u32_e32 vcc, s2, v0
	s_movk_i32 s2, 0x4a
	global_store_short v[2:3], v6, off
	v_mov_b32_e32 v3, s15
	s_waitcnt vmcnt(7)
	v_cvt_f32_f16_e32 v7, v26
	v_mul_f32_e32 v7, 0x3fb8aa3b, v7
	v_exp_f32_e32 v7, v7
	v_cvt_f16_f32_e32 v7, v7
	v_cvt_f32_f16_e32 v2, v7
	v_fma_mix_f32 v6, -v19, v7, v18 op_sel_hi:[1,1,1]
	s_waitcnt vmcnt(6)
	v_cvt_f32_f16_e32 v7, v25
	v_mul_f32_e64 v2, v20, -v2
	v_cndmask_b32_e32 v2, v2, v6, vcc
	v_cvt_f16_f32_e32 v6, v2
	v_add_co_u32_e32 v2, vcc, s14, v4
	v_addc_co_u32_e32 v3, vcc, v3, v5, vcc
	global_store_short v[2:3], v6, off
	v_mul_f32_e32 v2, 0x3fb8aa3b, v7
	v_exp_f32_e32 v7, v2
	v_add_u32_e32 v2, 0xa86a4, v1
	v_ashrrev_i32_e32 v3, 31, v2
	v_lshlrev_b64 v[2:3], 1, v[2:3]
	v_mov_b32_e32 v5, s1
	v_add_co_u32_e32 v4, vcc, s0, v2
	v_addc_co_u32_e32 v5, vcc, v5, v3, vcc
	global_load_ushort v21, v[4:5], off
	v_mov_b32_e32 v6, s15
	v_add_co_u32_e32 v4, vcc, s14, v16
	v_addc_co_u32_e32 v5, vcc, v6, v17, vcc
	v_add_u32_e32 v6, 0xaa8c0, v1
	v_cvt_f16_f32_e32 v22, v7
	v_ashrrev_i32_e32 v7, 31, v6
	v_lshlrev_b64 v[6:7], 1, v[6:7]
	v_mov_b32_e32 v1, s1
	v_add_co_u32_e32 v16, vcc, s0, v6
	v_addc_co_u32_e32 v17, vcc, v1, v7, vcc
	global_load_ushort v16, v[16:17], off
	s_waitcnt vmcnt(8)
	v_cvt_f32_f16_e32 v25, v33
	v_cvt_f32_f16_e32 v1, v22
	v_fma_mix_f32 v22, -v19, v22, v18 op_sel_hi:[1,1,1]
	v_cmp_eq_u32_e32 vcc, s2, v0
	v_mul_f32_e32 v17, 0x3fb8aa3b, v25
	v_mul_f32_e64 v1, v20, -v1
	v_exp_f32_e32 v17, v17
	v_cndmask_b32_e32 v1, v1, v22, vcc
	v_cvt_f16_f32_e32 v1, v1
	s_movk_i32 s0, 0x4b
	v_cvt_f16_f32_e32 v17, v17
	v_cmp_eq_u32_e32 vcc, s0, v0
	global_store_short v[4:5], v1, off
	s_waitcnt vmcnt(8)
	v_cvt_f32_f16_e32 v5, v27
	v_cvt_f32_f16_e32 v4, v17
	v_fma_mix_f32 v17, -v19, v17, v18 op_sel_hi:[1,1,1]
	v_mov_b32_e32 v1, s15
	v_mul_f32_e32 v5, 0x3fb8aa3b, v5
	v_exp_f32_e32 v5, v5
	v_mul_f32_e64 v4, v20, -v4
	v_cndmask_b32_e32 v4, v4, v17, vcc
	v_cvt_f16_f32_e32 v17, v4
	v_cvt_f16_f32_e32 v22, v5
	v_add_co_u32_e32 v4, vcc, s14, v8
	v_addc_co_u32_e32 v5, vcc, v1, v9, vcc
	global_store_short v[4:5], v17, off
	s_waitcnt vmcnt(8)
	v_cvt_f32_f16_e32 v5, v24
	v_cvt_f32_f16_e32 v4, v22
	s_movk_i32 s0, 0x4c
	v_fma_mix_f32 v8, -v19, v22, v18 op_sel_hi:[1,1,1]
	v_mul_f32_e32 v5, 0x3fb8aa3b, v5
	v_mul_f32_e64 v4, v20, -v4
	v_exp_f32_e32 v5, v5
	v_cmp_eq_u32_e32 vcc, s0, v0
	v_cndmask_b32_e32 v4, v4, v8, vcc
	v_cvt_f16_f32_e32 v8, v4
	v_cvt_f16_f32_e32 v9, v5
	v_add_co_u32_e32 v4, vcc, s14, v10
	v_addc_co_u32_e32 v5, vcc, v1, v11, vcc
	global_store_short v[4:5], v8, off
	s_waitcnt vmcnt(8)
	v_cvt_f32_f16_e32 v4, v23
	v_cvt_f32_f16_e32 v1, v9
	s_movk_i32 s0, 0x4d
	v_fma_mix_f32 v5, -v19, v9, v18 op_sel_hi:[1,1,1]
	v_mul_f32_e32 v4, 0x3fb8aa3b, v4
	v_exp_f32_e32 v4, v4
	v_mul_f32_e64 v1, v20, -v1
	v_cmp_eq_u32_e32 vcc, s0, v0
	v_cndmask_b32_e32 v1, v1, v5, vcc
	v_cvt_f16_f32_e32 v1, v1
	v_cvt_f16_f32_e32 v8, v4
	v_mov_b32_e32 v5, s15
	v_add_co_u32_e32 v4, vcc, s14, v12
	v_addc_co_u32_e32 v5, vcc, v5, v13, vcc
	global_store_short v[4:5], v1, off
	v_cvt_f32_f16_e32 v1, v8
	s_movk_i32 s0, 0x4e
	v_fma_mix_f32 v5, -v19, v8, v18 op_sel_hi:[1,1,1]
	s_waitcnt vmcnt(5)
	v_cvt_f32_f16_e32 v4, v21
	v_mul_f32_e64 v1, v20, -v1
	v_cmp_eq_u32_e32 vcc, s0, v0
	v_cndmask_b32_e32 v1, v1, v5, vcc
	v_mul_f32_e32 v4, 0x3fb8aa3b, v4
	v_exp_f32_e32 v4, v4
	v_cvt_f16_f32_e32 v1, v1
	v_mov_b32_e32 v5, s15
	s_movk_i32 s0, 0x4f
	v_cvt_f16_f32_e32 v8, v4
	v_add_co_u32_e32 v4, vcc, s14, v14
	v_addc_co_u32_e32 v5, vcc, v5, v15, vcc
	global_store_short v[4:5], v1, off
	s_waitcnt vmcnt(5)
	v_cvt_f32_f16_e32 v4, v16
	v_cvt_f32_f16_e32 v1, v8
	v_fma_mix_f32 v5, -v19, v8, v18 op_sel_hi:[1,1,1]
	v_cmp_eq_u32_e32 vcc, s0, v0
	v_mul_f32_e32 v4, 0x3fb8aa3b, v4
	v_exp_f32_e32 v4, v4
	v_mul_f32_e64 v1, v20, -v1
	v_cndmask_b32_e32 v1, v1, v5, vcc
	v_mov_b32_e32 v5, s15
	v_cvt_f16_f32_e32 v4, v4
	v_cvt_f16_f32_e32 v8, v1
	v_add_co_u32_e32 v1, vcc, s14, v2
	v_addc_co_u32_e32 v2, vcc, v5, v3, vcc
	v_cvt_f32_f16_e32 v3, v4
	s_movk_i32 s0, 0x50
	global_store_short v[1:2], v8, off
	v_fma_mix_f32 v1, -v19, v4, v18 op_sel_hi:[1,1,1]
	v_mul_f32_e64 v2, v20, -v3
	v_cmp_eq_u32_e32 vcc, s0, v0
	v_cndmask_b32_e32 v0, v2, v1, vcc
	v_cvt_f16_f32_e32 v2, v0
	v_mov_b32_e32 v1, s15
	v_add_co_u32_e32 v0, vcc, s14, v6
	v_addc_co_u32_e32 v1, vcc, v1, v7, vcc
	global_store_short v[0:1], v2, off
.LBB0_4:
	s_endpgm
	.section	.rodata,"a",@progbits
	.p2align	6, 0x0
	.amdhsa_kernel _Z8loss_bwdI6__halfS0_EvPKT_PKT0_S6_PKlS3_S8_PS4_
		.amdhsa_group_segment_fixed_size 0
		.amdhsa_private_segment_fixed_size 0
		.amdhsa_kernarg_size 56
		.amdhsa_user_sgpr_count 6
		.amdhsa_user_sgpr_private_segment_buffer 1
		.amdhsa_user_sgpr_dispatch_ptr 0
		.amdhsa_user_sgpr_queue_ptr 0
		.amdhsa_user_sgpr_kernarg_segment_ptr 1
		.amdhsa_user_sgpr_dispatch_id 0
		.amdhsa_user_sgpr_flat_scratch_init 0
		.amdhsa_user_sgpr_private_segment_size 0
		.amdhsa_uses_dynamic_stack 0
		.amdhsa_system_sgpr_private_segment_wavefront_offset 0
		.amdhsa_system_sgpr_workgroup_id_x 1
		.amdhsa_system_sgpr_workgroup_id_y 1
		.amdhsa_system_sgpr_workgroup_id_z 0
		.amdhsa_system_sgpr_workgroup_info 0
		.amdhsa_system_vgpr_workitem_id 0
		.amdhsa_next_free_vgpr 36
		.amdhsa_next_free_sgpr 16
		.amdhsa_reserve_vcc 1
		.amdhsa_reserve_flat_scratch 0
		.amdhsa_float_round_mode_32 0
		.amdhsa_float_round_mode_16_64 0
		.amdhsa_float_denorm_mode_32 3
		.amdhsa_float_denorm_mode_16_64 3
		.amdhsa_dx10_clamp 1
		.amdhsa_ieee_mode 1
		.amdhsa_fp16_overflow 0
		.amdhsa_exception_fp_ieee_invalid_op 0
		.amdhsa_exception_fp_denorm_src 0
		.amdhsa_exception_fp_ieee_div_zero 0
		.amdhsa_exception_fp_ieee_overflow 0
		.amdhsa_exception_fp_ieee_underflow 0
		.amdhsa_exception_fp_ieee_inexact 0
		.amdhsa_exception_int_div_zero 0
	.end_amdhsa_kernel
	.text
.Lfunc_end0:
	.size	_Z8loss_bwdI6__halfS0_EvPKT_PKT0_S6_PKlS3_S8_PS4_, .Lfunc_end0-_Z8loss_bwdI6__halfS0_EvPKT_PKT0_S6_PKlS3_S8_PS4_
                                        ; -- End function
	.set _Z8loss_bwdI6__halfS0_EvPKT_PKT0_S6_PKlS3_S8_PS4_.num_vgpr, 36
	.set _Z8loss_bwdI6__halfS0_EvPKT_PKT0_S6_PKlS3_S8_PS4_.num_agpr, 0
	.set _Z8loss_bwdI6__halfS0_EvPKT_PKT0_S6_PKlS3_S8_PS4_.numbered_sgpr, 16
	.set _Z8loss_bwdI6__halfS0_EvPKT_PKT0_S6_PKlS3_S8_PS4_.num_named_barrier, 0
	.set _Z8loss_bwdI6__halfS0_EvPKT_PKT0_S6_PKlS3_S8_PS4_.private_seg_size, 0
	.set _Z8loss_bwdI6__halfS0_EvPKT_PKT0_S6_PKlS3_S8_PS4_.uses_vcc, 1
	.set _Z8loss_bwdI6__halfS0_EvPKT_PKT0_S6_PKlS3_S8_PS4_.uses_flat_scratch, 0
	.set _Z8loss_bwdI6__halfS0_EvPKT_PKT0_S6_PKlS3_S8_PS4_.has_dyn_sized_stack, 0
	.set _Z8loss_bwdI6__halfS0_EvPKT_PKT0_S6_PKlS3_S8_PS4_.has_recursion, 0
	.set _Z8loss_bwdI6__halfS0_EvPKT_PKT0_S6_PKlS3_S8_PS4_.has_indirect_call, 0
	.section	.AMDGPU.csdata,"",@progbits
; Kernel info:
; codeLenInByte = 9804
; TotalNumSgprs: 20
; NumVgprs: 36
; ScratchSize: 0
; MemoryBound: 0
; FloatMode: 240
; IeeeMode: 1
; LDSByteSize: 0 bytes/workgroup (compile time only)
; SGPRBlocks: 2
; VGPRBlocks: 8
; NumSGPRsForWavesPerEU: 20
; NumVGPRsForWavesPerEU: 36
; Occupancy: 7
; WaveLimiterHint : 1
; COMPUTE_PGM_RSRC2:SCRATCH_EN: 0
; COMPUTE_PGM_RSRC2:USER_SGPR: 6
; COMPUTE_PGM_RSRC2:TRAP_HANDLER: 0
; COMPUTE_PGM_RSRC2:TGID_X_EN: 1
; COMPUTE_PGM_RSRC2:TGID_Y_EN: 1
; COMPUTE_PGM_RSRC2:TGID_Z_EN: 0
; COMPUTE_PGM_RSRC2:TIDIG_COMP_CNT: 0
	.section	.text._Z8loss_bwdIffEvPKT_PKT0_S5_PKlS2_S7_PS3_,"axG",@progbits,_Z8loss_bwdIffEvPKT_PKT0_S5_PKlS2_S7_PS3_,comdat
	.protected	_Z8loss_bwdIffEvPKT_PKT0_S5_PKlS2_S7_PS3_ ; -- Begin function _Z8loss_bwdIffEvPKT_PKT0_S5_PKlS2_S7_PS3_
	.globl	_Z8loss_bwdIffEvPKT_PKT0_S5_PKlS2_S7_PS3_
	.p2align	8
	.type	_Z8loss_bwdIffEvPKT_PKT0_S5_PKlS2_S7_PS3_,@function
_Z8loss_bwdIffEvPKT_PKT0_S5_PKlS2_S7_PS3_: ; @_Z8loss_bwdIffEvPKT_PKT0_S5_PKlS2_S7_PS3_
; %bb.0:
	v_lshl_add_u32 v0, s6, 6, v0
	s_movk_i32 s0, 0x221c
	v_cmp_gt_i32_e32 vcc, s0, v0
	s_and_saveexec_b64 s[0:1], vcc
	s_cbranch_execz .LBB1_4
; %bb.1:
	s_load_dwordx4 s[0:3], s[4:5], 0x0
	s_load_dwordx8 s[8:15], s[4:5], 0x18
	s_mul_i32 s6, s7, 0x221c
	v_add_u32_e32 v2, s6, v0
	v_ashrrev_i32_e32 v3, 31, v2
	v_lshlrev_b64 v[4:5], 3, v[2:3]
	s_waitcnt lgkmcnt(0)
	v_mov_b32_e32 v1, s9
	v_add_co_u32_e32 v0, vcc, s8, v4
	v_addc_co_u32_e32 v1, vcc, v1, v5, vcc
	global_load_dwordx2 v[0:1], v[0:1], off
	s_waitcnt vmcnt(0)
	v_mov_b32_e32 v1, s13
	v_add_co_u32_e32 v4, vcc, s12, v4
	v_addc_co_u32_e32 v5, vcc, v1, v5, vcc
	global_load_dwordx2 v[5:6], v[4:5], off
	v_lshlrev_b64 v[3:4], 2, v[2:3]
	v_mov_b32_e32 v1, s3
	v_add_co_u32_e32 v7, vcc, s2, v3
	v_addc_co_u32_e32 v8, vcc, v1, v4, vcc
	global_load_dword v18, v[7:8], off
	s_waitcnt vmcnt(1)
	v_cmp_ne_u64_e32 vcc, 0, v[5:6]
	s_and_saveexec_b64 s[2:3], vcc
	s_cbranch_execz .LBB1_3
; %bb.2:
	s_load_dwordx2 s[4:5], s[4:5], 0x10
	s_waitcnt lgkmcnt(0)
	v_mov_b32_e32 v1, s5
	v_add_co_u32_e32 v5, vcc, s4, v3
	v_addc_co_u32_e32 v6, vcc, v1, v4, vcc
	global_load_dword v1, v[5:6], off
	s_waitcnt vmcnt(0)
	v_add_f32_e32 v18, v18, v1
.LBB1_3:
	s_or_b64 exec, exec, s[2:3]
	s_mul_i32 s7, s7, 0xaa8c0
	v_add_u32_e32 v1, s7, v2
	s_movk_i32 s2, 0x221c
	v_mad_u64_u32 v[5:6], s[2:3], v0, s2, v[1:2]
	v_mov_b32_e32 v6, s11
	v_add_co_u32_e32 v2, vcc, s10, v3
	v_addc_co_u32_e32 v3, vcc, v6, v4, vcc
	global_load_dword v19, v[2:3], off
	v_ashrrev_i32_e32 v6, 31, v5
	v_ashrrev_i32_e32 v2, 31, v1
	v_lshlrev_b64 v[3:4], 2, v[5:6]
	v_lshlrev_b64 v[5:6], 2, v[1:2]
	v_mov_b32_e32 v2, s1
	v_add_co_u32_e32 v14, vcc, s0, v5
	v_addc_co_u32_e32 v15, vcc, v2, v6, vcc
	v_add_u32_e32 v2, 0x221c, v1
	v_add_co_u32_e32 v22, vcc, s0, v3
	v_ashrrev_i32_e32 v3, 31, v2
	v_mov_b32_e32 v7, s1
	v_lshlrev_b64 v[12:13], 2, v[2:3]
	v_addc_co_u32_e32 v23, vcc, v7, v4, vcc
	v_mov_b32_e32 v2, s1
	v_add_co_u32_e32 v16, vcc, s0, v12
	v_addc_co_u32_e32 v17, vcc, v2, v13, vcc
	v_add_u32_e32 v2, 0x4438, v1
	v_ashrrev_i32_e32 v3, 31, v2
	v_lshlrev_b64 v[8:9], 2, v[2:3]
	v_mov_b32_e32 v2, s1
	v_add_co_u32_e32 v24, vcc, s0, v8
	v_addc_co_u32_e32 v25, vcc, v2, v9, vcc
	v_add_u32_e32 v2, 0x6654, v1
	v_ashrrev_i32_e32 v3, 31, v2
	v_mov_b32_e32 v4, s15
	v_add_co_u32_e32 v26, vcc, s14, v5
	v_lshlrev_b64 v[10:11], 2, v[2:3]
	v_addc_co_u32_e32 v27, vcc, v4, v6, vcc
	v_mov_b32_e32 v2, s1
	v_add_co_u32_e32 v28, vcc, s0, v10
	v_addc_co_u32_e32 v29, vcc, v2, v11, vcc
	v_add_u32_e32 v2, 0x8870, v1
	v_ashrrev_i32_e32 v3, 31, v2
	v_lshlrev_b64 v[6:7], 2, v[2:3]
	v_mov_b32_e32 v2, s1
	v_add_co_u32_e32 v30, vcc, s0, v6
	v_addc_co_u32_e32 v31, vcc, v2, v7, vcc
	v_add_u32_e32 v2, 0xaa8c, v1
	v_ashrrev_i32_e32 v3, 31, v2
	v_lshlrev_b64 v[4:5], 2, v[2:3]
	;; [unrolled: 6-line block ×3, first 2 shown]
	v_mov_b32_e32 v20, s1
	v_add_co_u32_e32 v34, vcc, s0, v2
	v_addc_co_u32_e32 v35, vcc, v20, v3, vcc
	global_load_dword v36, v[14:15], off
	global_load_dword v21, v[16:17], off
	global_load_dword v20, v[24:25], off
	s_nop 0
	global_load_dword v17, v[28:29], off
	global_load_dword v16, v[30:31], off
	;; [unrolled: 1-line block ×3, first 2 shown]
                                        ; kill: killed $vgpr32 killed $vgpr33
                                        ; kill: killed $vgpr30 killed $vgpr31
	global_load_dword v14, v[34:35], off
	global_load_dword v24, v[22:23], off
	v_cmp_eq_u32_e32 vcc, 0, v0
	s_movk_i32 s2, 0x41
	s_waitcnt vmcnt(8)
	v_mul_f32_e64 v18, v19, -v18
	s_waitcnt vmcnt(7)
	v_mul_f32_e32 v19, 0x3fb8aa3b, v36
	v_exp_f32_e32 v22, v19
	s_waitcnt vmcnt(6)
	v_mul_f32_e32 v21, 0x3fb8aa3b, v21
	v_exp_f32_e32 v21, v21
	s_waitcnt vmcnt(0)
	v_mul_f32_e32 v19, v18, v24
	v_fma_f32 v23, -v19, v22, v18
	v_mul_f32_e64 v22, v19, -v22
	v_cndmask_b32_e32 v22, v22, v23, vcc
	global_store_dword v[26:27], v22, off
	v_mov_b32_e32 v22, s15
	v_add_co_u32_e32 v12, vcc, s14, v12
	v_addc_co_u32_e32 v13, vcc, v22, v13, vcc
	v_fma_f32 v22, -v19, v21, v18
	v_mul_f32_e64 v21, v19, -v21
	v_cmp_eq_u32_e32 vcc, 1, v0
	v_cndmask_b32_e32 v21, v21, v22, vcc
	global_store_dword v[12:13], v21, off
	v_mul_f32_e32 v13, 0x3fb8aa3b, v20
	v_exp_f32_e32 v13, v13
	v_mov_b32_e32 v12, s15
	v_add_co_u32_e32 v8, vcc, s14, v8
	v_addc_co_u32_e32 v9, vcc, v12, v9, vcc
	v_fma_f32 v12, -v19, v13, v18
	v_mul_f32_e64 v13, v19, -v13
	v_cmp_eq_u32_e32 vcc, 2, v0
	v_cndmask_b32_e32 v12, v13, v12, vcc
	global_store_dword v[8:9], v12, off
	v_mul_f32_e32 v8, 0x3fb8aa3b, v17
	v_exp_f32_e32 v12, v8
	v_mov_b32_e32 v9, s15
	v_add_co_u32_e32 v8, vcc, s14, v10
	v_addc_co_u32_e32 v9, vcc, v9, v11, vcc
	v_fma_f32 v10, -v19, v12, v18
	v_mul_f32_e64 v11, v19, -v12
	v_mul_f32_e32 v12, 0x3fb8aa3b, v16
	v_exp_f32_e32 v12, v12
	v_cmp_eq_u32_e32 vcc, 3, v0
	v_cndmask_b32_e32 v10, v11, v10, vcc
	global_store_dword v[8:9], v10, off
	v_mul_f32_e32 v10, 0x3fb8aa3b, v15
	v_exp_f32_e32 v10, v10
	v_fma_f32 v8, -v19, v12, v18
	v_mul_f32_e64 v9, v19, -v12
	v_cmp_eq_u32_e32 vcc, 4, v0
	v_cndmask_b32_e32 v8, v9, v8, vcc
	v_mov_b32_e32 v9, s15
	v_add_co_u32_e32 v6, vcc, s14, v6
	v_addc_co_u32_e32 v7, vcc, v9, v7, vcc
	global_store_dword v[6:7], v8, off
	v_fma_f32 v6, -v19, v10, v18
	v_mul_f32_e64 v7, v19, -v10
	v_cmp_eq_u32_e32 vcc, 5, v0
	v_cndmask_b32_e32 v10, v7, v6, vcc
	v_mov_b32_e32 v6, s15
	v_add_co_u32_e32 v4, vcc, s14, v4
	v_addc_co_u32_e32 v5, vcc, v6, v5, vcc
	v_mul_f32_e32 v6, 0x3fb8aa3b, v14
	v_exp_f32_e32 v11, v6
	v_add_u32_e32 v6, 0xeec4, v1
	v_ashrrev_i32_e32 v7, 31, v6
	v_lshlrev_b64 v[6:7], 2, v[6:7]
	v_mov_b32_e32 v9, s1
	v_add_co_u32_e32 v8, vcc, s0, v6
	v_addc_co_u32_e32 v9, vcc, v9, v7, vcc
	global_load_dword v20, v[8:9], off
	v_cmp_eq_u32_e32 vcc, 6, v0
	global_store_dword v[4:5], v10, off
	v_fma_f32 v4, -v19, v11, v18
	v_mul_f32_e64 v5, v19, -v11
	v_cndmask_b32_e32 v10, v5, v4, vcc
	v_add_u32_e32 v4, 0x110e0, v1
	v_ashrrev_i32_e32 v5, 31, v4
	v_lshlrev_b64 v[8:9], 2, v[4:5]
	v_mov_b32_e32 v5, s1
	v_add_co_u32_e32 v4, vcc, s0, v8
	v_addc_co_u32_e32 v5, vcc, v5, v9, vcc
	v_mov_b32_e32 v11, s15
	v_add_co_u32_e32 v2, vcc, s14, v2
	global_load_dword v22, v[4:5], off
	v_addc_co_u32_e32 v3, vcc, v11, v3, vcc
	global_store_dword v[2:3], v10, off
	v_add_u32_e32 v2, 0x132fc, v1
	v_ashrrev_i32_e32 v3, 31, v2
	v_lshlrev_b64 v[14:15], 2, v[2:3]
	v_mov_b32_e32 v3, s1
	v_add_co_u32_e32 v2, vcc, s0, v14
	v_addc_co_u32_e32 v3, vcc, v3, v15, vcc
	global_load_dword v27, v[2:3], off
	v_add_u32_e32 v2, 0x15518, v1
	v_ashrrev_i32_e32 v3, 31, v2
	v_lshlrev_b64 v[12:13], 2, v[2:3]
	v_mov_b32_e32 v3, s1
	v_add_co_u32_e32 v2, vcc, s0, v12
	v_addc_co_u32_e32 v3, vcc, v3, v13, vcc
	global_load_dword v26, v[2:3], off
	v_add_u32_e32 v2, 0x17734, v1
	v_mov_b32_e32 v4, s15
	v_add_co_u32_e32 v16, vcc, s14, v6
	v_ashrrev_i32_e32 v3, 31, v2
	v_addc_co_u32_e32 v17, vcc, v4, v7, vcc
	v_lshlrev_b64 v[10:11], 2, v[2:3]
	v_add_u32_e32 v4, 0x19950, v1
	v_ashrrev_i32_e32 v5, 31, v4
	v_mov_b32_e32 v3, s1
	v_add_co_u32_e32 v2, vcc, s0, v10
	v_lshlrev_b64 v[6:7], 2, v[4:5]
	v_addc_co_u32_e32 v3, vcc, v3, v11, vcc
	global_load_dword v24, v[2:3], off
	v_mov_b32_e32 v3, s1
	v_add_co_u32_e32 v2, vcc, s0, v6
	v_addc_co_u32_e32 v3, vcc, v3, v7, vcc
	global_load_dword v25, v[2:3], off
	v_add_u32_e32 v2, 0x1bb6c, v1
	v_ashrrev_i32_e32 v3, 31, v2
	v_lshlrev_b64 v[4:5], 2, v[2:3]
	v_mov_b32_e32 v3, s1
	v_add_co_u32_e32 v2, vcc, s0, v4
	v_addc_co_u32_e32 v3, vcc, v3, v5, vcc
	global_load_dword v23, v[2:3], off
	v_add_u32_e32 v2, 0x1dd88, v1
	v_ashrrev_i32_e32 v3, 31, v2
	v_lshlrev_b64 v[2:3], 2, v[2:3]
	v_mov_b32_e32 v21, s1
	v_add_co_u32_e32 v28, vcc, s0, v2
	v_addc_co_u32_e32 v29, vcc, v21, v3, vcc
	global_load_dword v21, v[28:29], off
	s_waitcnt vmcnt(9)
	v_mul_f32_e32 v20, 0x3fb8aa3b, v20
	v_exp_f32_e32 v20, v20
	v_cmp_eq_u32_e32 vcc, 7, v0
	v_fma_f32 v28, -v19, v20, v18
	v_mul_f32_e64 v20, v19, -v20
	v_cndmask_b32_e32 v20, v20, v28, vcc
	global_store_dword v[16:17], v20, off
	v_mov_b32_e32 v16, s15
	v_add_co_u32_e32 v8, vcc, s14, v8
	v_addc_co_u32_e32 v9, vcc, v16, v9, vcc
	v_cmp_eq_u32_e32 vcc, 8, v0
	s_waitcnt vmcnt(8)
	v_mul_f32_e32 v16, 0x3fb8aa3b, v22
	v_exp_f32_e32 v16, v16
	v_fma_f32 v17, -v19, v16, v18
	v_mul_f32_e64 v16, v19, -v16
	v_cndmask_b32_e32 v16, v16, v17, vcc
	global_store_dword v[8:9], v16, off
	v_add_co_u32_e32 v8, vcc, s14, v14
	v_mov_b32_e32 v9, s15
	s_waitcnt vmcnt(7)
	v_mul_f32_e32 v14, 0x3fb8aa3b, v27
	v_exp_f32_e32 v14, v14
	v_addc_co_u32_e32 v9, vcc, v9, v15, vcc
	v_cmp_eq_u32_e32 vcc, 9, v0
	v_fma_f32 v15, -v19, v14, v18
	v_mul_f32_e64 v14, v19, -v14
	v_cndmask_b32_e32 v14, v14, v15, vcc
	global_store_dword v[8:9], v14, off
	s_waitcnt vmcnt(7)
	v_mul_f32_e32 v8, 0x3fb8aa3b, v26
	v_exp_f32_e32 v14, v8
	v_mov_b32_e32 v9, s15
	v_add_co_u32_e32 v8, vcc, s14, v12
	v_addc_co_u32_e32 v9, vcc, v9, v13, vcc
	v_fma_f32 v12, -v19, v14, v18
	v_mul_f32_e64 v13, v19, -v14
	v_cmp_eq_u32_e32 vcc, 10, v0
	v_cndmask_b32_e32 v12, v13, v12, vcc
	global_store_dword v[8:9], v12, off
	v_mov_b32_e32 v9, s15
	s_waitcnt vmcnt(7)
	v_mul_f32_e32 v8, 0x3fb8aa3b, v24
	v_exp_f32_e32 v12, v8
	v_add_co_u32_e32 v8, vcc, s14, v10
	v_addc_co_u32_e32 v9, vcc, v9, v11, vcc
	v_fma_f32 v10, -v19, v12, v18
	v_mul_f32_e64 v11, v19, -v12
	s_waitcnt vmcnt(6)
	v_mul_f32_e32 v12, 0x3fb8aa3b, v25
	v_exp_f32_e32 v12, v12
	v_cmp_eq_u32_e32 vcc, 11, v0
	v_cndmask_b32_e32 v10, v11, v10, vcc
	global_store_dword v[8:9], v10, off
	v_fma_f32 v8, -v19, v12, v18
	v_mul_f32_e64 v9, v19, -v12
	s_waitcnt vmcnt(6)
	v_mul_f32_e32 v10, 0x3fb8aa3b, v23
	v_exp_f32_e32 v10, v10
	v_cmp_eq_u32_e32 vcc, 12, v0
	v_cndmask_b32_e32 v8, v9, v8, vcc
	v_mov_b32_e32 v9, s15
	v_add_co_u32_e32 v6, vcc, s14, v6
	v_addc_co_u32_e32 v7, vcc, v9, v7, vcc
	global_store_dword v[6:7], v8, off
	v_fma_f32 v6, -v19, v10, v18
	v_mul_f32_e64 v7, v19, -v10
	v_cmp_eq_u32_e32 vcc, 13, v0
	v_cndmask_b32_e32 v10, v7, v6, vcc
	v_mov_b32_e32 v6, s15
	v_add_co_u32_e32 v4, vcc, s14, v4
	v_addc_co_u32_e32 v5, vcc, v6, v5, vcc
	s_waitcnt vmcnt(6)
	v_mul_f32_e32 v6, 0x3fb8aa3b, v21
	v_exp_f32_e32 v11, v6
	v_add_u32_e32 v6, 0x1ffa4, v1
	v_ashrrev_i32_e32 v7, 31, v6
	v_lshlrev_b64 v[6:7], 2, v[6:7]
	v_mov_b32_e32 v9, s1
	v_add_co_u32_e32 v8, vcc, s0, v6
	v_addc_co_u32_e32 v9, vcc, v9, v7, vcc
	global_load_dword v20, v[8:9], off
	v_cmp_eq_u32_e32 vcc, 14, v0
	global_store_dword v[4:5], v10, off
	v_fma_f32 v4, -v19, v11, v18
	v_mul_f32_e64 v5, v19, -v11
	v_cndmask_b32_e32 v10, v5, v4, vcc
	v_add_u32_e32 v4, 0x221c0, v1
	v_ashrrev_i32_e32 v5, 31, v4
	v_lshlrev_b64 v[8:9], 2, v[4:5]
	v_mov_b32_e32 v5, s1
	v_add_co_u32_e32 v4, vcc, s0, v8
	v_addc_co_u32_e32 v5, vcc, v5, v9, vcc
	v_mov_b32_e32 v11, s15
	v_add_co_u32_e32 v2, vcc, s14, v2
	global_load_dword v22, v[4:5], off
	v_addc_co_u32_e32 v3, vcc, v11, v3, vcc
	global_store_dword v[2:3], v10, off
	v_add_u32_e32 v2, 0x243dc, v1
	v_ashrrev_i32_e32 v3, 31, v2
	v_lshlrev_b64 v[14:15], 2, v[2:3]
	v_mov_b32_e32 v3, s1
	v_add_co_u32_e32 v2, vcc, s0, v14
	v_addc_co_u32_e32 v3, vcc, v3, v15, vcc
	global_load_dword v27, v[2:3], off
	v_add_u32_e32 v2, 0x265f8, v1
	v_ashrrev_i32_e32 v3, 31, v2
	v_lshlrev_b64 v[12:13], 2, v[2:3]
	v_mov_b32_e32 v3, s1
	v_add_co_u32_e32 v2, vcc, s0, v12
	v_addc_co_u32_e32 v3, vcc, v3, v13, vcc
	global_load_dword v26, v[2:3], off
	v_add_u32_e32 v2, 0x28814, v1
	v_mov_b32_e32 v4, s15
	v_add_co_u32_e32 v16, vcc, s14, v6
	v_ashrrev_i32_e32 v3, 31, v2
	v_addc_co_u32_e32 v17, vcc, v4, v7, vcc
	v_lshlrev_b64 v[10:11], 2, v[2:3]
	v_add_u32_e32 v4, 0x2aa30, v1
	v_ashrrev_i32_e32 v5, 31, v4
	v_mov_b32_e32 v3, s1
	v_add_co_u32_e32 v2, vcc, s0, v10
	v_lshlrev_b64 v[6:7], 2, v[4:5]
	v_addc_co_u32_e32 v3, vcc, v3, v11, vcc
	global_load_dword v24, v[2:3], off
	v_mov_b32_e32 v3, s1
	v_add_co_u32_e32 v2, vcc, s0, v6
	v_addc_co_u32_e32 v3, vcc, v3, v7, vcc
	global_load_dword v25, v[2:3], off
	v_add_u32_e32 v2, 0x2cc4c, v1
	v_ashrrev_i32_e32 v3, 31, v2
	v_lshlrev_b64 v[4:5], 2, v[2:3]
	v_mov_b32_e32 v3, s1
	v_add_co_u32_e32 v2, vcc, s0, v4
	v_addc_co_u32_e32 v3, vcc, v3, v5, vcc
	global_load_dword v23, v[2:3], off
	v_add_u32_e32 v2, 0x2ee68, v1
	v_ashrrev_i32_e32 v3, 31, v2
	v_lshlrev_b64 v[2:3], 2, v[2:3]
	v_mov_b32_e32 v21, s1
	v_add_co_u32_e32 v28, vcc, s0, v2
	v_addc_co_u32_e32 v29, vcc, v21, v3, vcc
	global_load_dword v21, v[28:29], off
	s_waitcnt vmcnt(9)
	v_mul_f32_e32 v20, 0x3fb8aa3b, v20
	v_exp_f32_e32 v20, v20
	v_cmp_eq_u32_e32 vcc, 15, v0
	v_fma_f32 v28, -v19, v20, v18
	v_mul_f32_e64 v20, v19, -v20
	v_cndmask_b32_e32 v20, v20, v28, vcc
	global_store_dword v[16:17], v20, off
	v_mov_b32_e32 v16, s15
	v_add_co_u32_e32 v8, vcc, s14, v8
	v_addc_co_u32_e32 v9, vcc, v16, v9, vcc
	v_cmp_eq_u32_e32 vcc, 16, v0
	s_waitcnt vmcnt(8)
	v_mul_f32_e32 v16, 0x3fb8aa3b, v22
	v_exp_f32_e32 v16, v16
	v_fma_f32 v17, -v19, v16, v18
	v_mul_f32_e64 v16, v19, -v16
	v_cndmask_b32_e32 v16, v16, v17, vcc
	global_store_dword v[8:9], v16, off
	v_add_co_u32_e32 v8, vcc, s14, v14
	v_mov_b32_e32 v9, s15
	s_waitcnt vmcnt(7)
	v_mul_f32_e32 v14, 0x3fb8aa3b, v27
	v_exp_f32_e32 v14, v14
	v_addc_co_u32_e32 v9, vcc, v9, v15, vcc
	v_cmp_eq_u32_e32 vcc, 17, v0
	v_fma_f32 v15, -v19, v14, v18
	v_mul_f32_e64 v14, v19, -v14
	v_cndmask_b32_e32 v14, v14, v15, vcc
	global_store_dword v[8:9], v14, off
	s_waitcnt vmcnt(7)
	v_mul_f32_e32 v8, 0x3fb8aa3b, v26
	v_exp_f32_e32 v14, v8
	v_mov_b32_e32 v9, s15
	v_add_co_u32_e32 v8, vcc, s14, v12
	v_addc_co_u32_e32 v9, vcc, v9, v13, vcc
	v_fma_f32 v12, -v19, v14, v18
	v_mul_f32_e64 v13, v19, -v14
	v_cmp_eq_u32_e32 vcc, 18, v0
	v_cndmask_b32_e32 v12, v13, v12, vcc
	global_store_dword v[8:9], v12, off
	v_mov_b32_e32 v9, s15
	s_waitcnt vmcnt(7)
	v_mul_f32_e32 v8, 0x3fb8aa3b, v24
	v_exp_f32_e32 v12, v8
	v_add_co_u32_e32 v8, vcc, s14, v10
	v_addc_co_u32_e32 v9, vcc, v9, v11, vcc
	v_fma_f32 v10, -v19, v12, v18
	v_mul_f32_e64 v11, v19, -v12
	s_waitcnt vmcnt(6)
	v_mul_f32_e32 v12, 0x3fb8aa3b, v25
	v_exp_f32_e32 v12, v12
	v_cmp_eq_u32_e32 vcc, 19, v0
	v_cndmask_b32_e32 v10, v11, v10, vcc
	global_store_dword v[8:9], v10, off
	v_fma_f32 v8, -v19, v12, v18
	v_mul_f32_e64 v9, v19, -v12
	s_waitcnt vmcnt(6)
	v_mul_f32_e32 v10, 0x3fb8aa3b, v23
	v_exp_f32_e32 v10, v10
	v_cmp_eq_u32_e32 vcc, 20, v0
	v_cndmask_b32_e32 v8, v9, v8, vcc
	v_mov_b32_e32 v9, s15
	v_add_co_u32_e32 v6, vcc, s14, v6
	v_addc_co_u32_e32 v7, vcc, v9, v7, vcc
	global_store_dword v[6:7], v8, off
	v_fma_f32 v6, -v19, v10, v18
	v_mul_f32_e64 v7, v19, -v10
	v_cmp_eq_u32_e32 vcc, 21, v0
	v_cndmask_b32_e32 v10, v7, v6, vcc
	v_mov_b32_e32 v6, s15
	v_add_co_u32_e32 v4, vcc, s14, v4
	v_addc_co_u32_e32 v5, vcc, v6, v5, vcc
	s_waitcnt vmcnt(6)
	v_mul_f32_e32 v6, 0x3fb8aa3b, v21
	v_exp_f32_e32 v11, v6
	v_add_u32_e32 v6, 0x31084, v1
	v_ashrrev_i32_e32 v7, 31, v6
	v_lshlrev_b64 v[6:7], 2, v[6:7]
	v_mov_b32_e32 v9, s1
	v_add_co_u32_e32 v8, vcc, s0, v6
	v_addc_co_u32_e32 v9, vcc, v9, v7, vcc
	global_load_dword v20, v[8:9], off
	v_cmp_eq_u32_e32 vcc, 22, v0
	global_store_dword v[4:5], v10, off
	v_fma_f32 v4, -v19, v11, v18
	v_mul_f32_e64 v5, v19, -v11
	v_cndmask_b32_e32 v10, v5, v4, vcc
	v_add_u32_e32 v4, 0x332a0, v1
	v_ashrrev_i32_e32 v5, 31, v4
	v_lshlrev_b64 v[8:9], 2, v[4:5]
	v_mov_b32_e32 v5, s1
	v_add_co_u32_e32 v4, vcc, s0, v8
	v_addc_co_u32_e32 v5, vcc, v5, v9, vcc
	v_mov_b32_e32 v11, s15
	v_add_co_u32_e32 v2, vcc, s14, v2
	global_load_dword v22, v[4:5], off
	v_addc_co_u32_e32 v3, vcc, v11, v3, vcc
	global_store_dword v[2:3], v10, off
	v_add_u32_e32 v2, 0x354bc, v1
	v_ashrrev_i32_e32 v3, 31, v2
	v_lshlrev_b64 v[14:15], 2, v[2:3]
	v_mov_b32_e32 v3, s1
	v_add_co_u32_e32 v2, vcc, s0, v14
	v_addc_co_u32_e32 v3, vcc, v3, v15, vcc
	global_load_dword v27, v[2:3], off
	v_add_u32_e32 v2, 0x376d8, v1
	v_ashrrev_i32_e32 v3, 31, v2
	v_lshlrev_b64 v[12:13], 2, v[2:3]
	v_mov_b32_e32 v3, s1
	v_add_co_u32_e32 v2, vcc, s0, v12
	v_addc_co_u32_e32 v3, vcc, v3, v13, vcc
	global_load_dword v26, v[2:3], off
	v_add_u32_e32 v2, 0x398f4, v1
	v_mov_b32_e32 v4, s15
	v_add_co_u32_e32 v16, vcc, s14, v6
	v_ashrrev_i32_e32 v3, 31, v2
	v_addc_co_u32_e32 v17, vcc, v4, v7, vcc
	v_lshlrev_b64 v[10:11], 2, v[2:3]
	v_add_u32_e32 v4, 0x3bb10, v1
	v_ashrrev_i32_e32 v5, 31, v4
	v_mov_b32_e32 v3, s1
	v_add_co_u32_e32 v2, vcc, s0, v10
	v_lshlrev_b64 v[6:7], 2, v[4:5]
	v_addc_co_u32_e32 v3, vcc, v3, v11, vcc
	global_load_dword v24, v[2:3], off
	v_mov_b32_e32 v3, s1
	v_add_co_u32_e32 v2, vcc, s0, v6
	v_addc_co_u32_e32 v3, vcc, v3, v7, vcc
	global_load_dword v25, v[2:3], off
	v_add_u32_e32 v2, 0x3dd2c, v1
	v_ashrrev_i32_e32 v3, 31, v2
	v_lshlrev_b64 v[4:5], 2, v[2:3]
	v_mov_b32_e32 v3, s1
	v_add_co_u32_e32 v2, vcc, s0, v4
	v_addc_co_u32_e32 v3, vcc, v3, v5, vcc
	global_load_dword v23, v[2:3], off
	v_add_u32_e32 v2, 0x3ff48, v1
	v_ashrrev_i32_e32 v3, 31, v2
	v_lshlrev_b64 v[2:3], 2, v[2:3]
	v_mov_b32_e32 v21, s1
	v_add_co_u32_e32 v28, vcc, s0, v2
	v_addc_co_u32_e32 v29, vcc, v21, v3, vcc
	global_load_dword v21, v[28:29], off
	s_waitcnt vmcnt(9)
	v_mul_f32_e32 v20, 0x3fb8aa3b, v20
	v_exp_f32_e32 v20, v20
	v_cmp_eq_u32_e32 vcc, 23, v0
	v_fma_f32 v28, -v19, v20, v18
	v_mul_f32_e64 v20, v19, -v20
	v_cndmask_b32_e32 v20, v20, v28, vcc
	global_store_dword v[16:17], v20, off
	v_mov_b32_e32 v16, s15
	v_add_co_u32_e32 v8, vcc, s14, v8
	v_addc_co_u32_e32 v9, vcc, v16, v9, vcc
	v_cmp_eq_u32_e32 vcc, 24, v0
	s_waitcnt vmcnt(8)
	v_mul_f32_e32 v16, 0x3fb8aa3b, v22
	v_exp_f32_e32 v16, v16
	v_fma_f32 v17, -v19, v16, v18
	v_mul_f32_e64 v16, v19, -v16
	v_cndmask_b32_e32 v16, v16, v17, vcc
	global_store_dword v[8:9], v16, off
	v_add_co_u32_e32 v8, vcc, s14, v14
	v_mov_b32_e32 v9, s15
	s_waitcnt vmcnt(7)
	v_mul_f32_e32 v14, 0x3fb8aa3b, v27
	v_exp_f32_e32 v14, v14
	v_addc_co_u32_e32 v9, vcc, v9, v15, vcc
	v_cmp_eq_u32_e32 vcc, 25, v0
	v_fma_f32 v15, -v19, v14, v18
	v_mul_f32_e64 v14, v19, -v14
	v_cndmask_b32_e32 v14, v14, v15, vcc
	global_store_dword v[8:9], v14, off
	s_waitcnt vmcnt(7)
	v_mul_f32_e32 v8, 0x3fb8aa3b, v26
	v_exp_f32_e32 v14, v8
	v_mov_b32_e32 v9, s15
	v_add_co_u32_e32 v8, vcc, s14, v12
	v_addc_co_u32_e32 v9, vcc, v9, v13, vcc
	v_fma_f32 v12, -v19, v14, v18
	v_mul_f32_e64 v13, v19, -v14
	v_cmp_eq_u32_e32 vcc, 26, v0
	v_cndmask_b32_e32 v12, v13, v12, vcc
	global_store_dword v[8:9], v12, off
	v_mov_b32_e32 v9, s15
	s_waitcnt vmcnt(7)
	v_mul_f32_e32 v8, 0x3fb8aa3b, v24
	v_exp_f32_e32 v12, v8
	v_add_co_u32_e32 v8, vcc, s14, v10
	v_addc_co_u32_e32 v9, vcc, v9, v11, vcc
	v_fma_f32 v10, -v19, v12, v18
	v_mul_f32_e64 v11, v19, -v12
	s_waitcnt vmcnt(6)
	v_mul_f32_e32 v12, 0x3fb8aa3b, v25
	v_exp_f32_e32 v12, v12
	v_cmp_eq_u32_e32 vcc, 27, v0
	v_cndmask_b32_e32 v10, v11, v10, vcc
	global_store_dword v[8:9], v10, off
	v_fma_f32 v8, -v19, v12, v18
	v_mul_f32_e64 v9, v19, -v12
	s_waitcnt vmcnt(6)
	v_mul_f32_e32 v10, 0x3fb8aa3b, v23
	v_exp_f32_e32 v10, v10
	v_cmp_eq_u32_e32 vcc, 28, v0
	v_cndmask_b32_e32 v8, v9, v8, vcc
	v_mov_b32_e32 v9, s15
	v_add_co_u32_e32 v6, vcc, s14, v6
	v_addc_co_u32_e32 v7, vcc, v9, v7, vcc
	global_store_dword v[6:7], v8, off
	v_fma_f32 v6, -v19, v10, v18
	v_mul_f32_e64 v7, v19, -v10
	v_cmp_eq_u32_e32 vcc, 29, v0
	v_cndmask_b32_e32 v10, v7, v6, vcc
	v_mov_b32_e32 v6, s15
	v_add_co_u32_e32 v4, vcc, s14, v4
	v_addc_co_u32_e32 v5, vcc, v6, v5, vcc
	s_waitcnt vmcnt(6)
	v_mul_f32_e32 v6, 0x3fb8aa3b, v21
	v_exp_f32_e32 v11, v6
	v_add_u32_e32 v6, 0x42164, v1
	v_ashrrev_i32_e32 v7, 31, v6
	v_lshlrev_b64 v[6:7], 2, v[6:7]
	v_mov_b32_e32 v9, s1
	v_add_co_u32_e32 v8, vcc, s0, v6
	v_addc_co_u32_e32 v9, vcc, v9, v7, vcc
	global_load_dword v20, v[8:9], off
	v_cmp_eq_u32_e32 vcc, 30, v0
	global_store_dword v[4:5], v10, off
	v_fma_f32 v4, -v19, v11, v18
	v_mul_f32_e64 v5, v19, -v11
	v_cndmask_b32_e32 v10, v5, v4, vcc
	v_add_u32_e32 v4, 0x44380, v1
	v_ashrrev_i32_e32 v5, 31, v4
	v_lshlrev_b64 v[8:9], 2, v[4:5]
	v_mov_b32_e32 v5, s1
	v_add_co_u32_e32 v4, vcc, s0, v8
	v_addc_co_u32_e32 v5, vcc, v5, v9, vcc
	v_mov_b32_e32 v11, s15
	v_add_co_u32_e32 v2, vcc, s14, v2
	global_load_dword v22, v[4:5], off
	v_addc_co_u32_e32 v3, vcc, v11, v3, vcc
	global_store_dword v[2:3], v10, off
	v_add_u32_e32 v2, 0x4659c, v1
	v_ashrrev_i32_e32 v3, 31, v2
	v_lshlrev_b64 v[14:15], 2, v[2:3]
	v_mov_b32_e32 v3, s1
	v_add_co_u32_e32 v2, vcc, s0, v14
	v_addc_co_u32_e32 v3, vcc, v3, v15, vcc
	global_load_dword v27, v[2:3], off
	v_add_u32_e32 v2, 0x487b8, v1
	v_ashrrev_i32_e32 v3, 31, v2
	v_lshlrev_b64 v[12:13], 2, v[2:3]
	v_mov_b32_e32 v3, s1
	v_add_co_u32_e32 v2, vcc, s0, v12
	v_addc_co_u32_e32 v3, vcc, v3, v13, vcc
	global_load_dword v26, v[2:3], off
	v_add_u32_e32 v2, 0x4a9d4, v1
	v_mov_b32_e32 v4, s15
	v_add_co_u32_e32 v16, vcc, s14, v6
	v_ashrrev_i32_e32 v3, 31, v2
	v_addc_co_u32_e32 v17, vcc, v4, v7, vcc
	v_lshlrev_b64 v[10:11], 2, v[2:3]
	v_add_u32_e32 v4, 0x4cbf0, v1
	v_ashrrev_i32_e32 v5, 31, v4
	v_mov_b32_e32 v3, s1
	v_add_co_u32_e32 v2, vcc, s0, v10
	v_lshlrev_b64 v[6:7], 2, v[4:5]
	v_addc_co_u32_e32 v3, vcc, v3, v11, vcc
	global_load_dword v24, v[2:3], off
	v_mov_b32_e32 v3, s1
	v_add_co_u32_e32 v2, vcc, s0, v6
	v_addc_co_u32_e32 v3, vcc, v3, v7, vcc
	global_load_dword v25, v[2:3], off
	v_add_u32_e32 v2, 0x4ee0c, v1
	v_ashrrev_i32_e32 v3, 31, v2
	v_lshlrev_b64 v[4:5], 2, v[2:3]
	v_mov_b32_e32 v3, s1
	v_add_co_u32_e32 v2, vcc, s0, v4
	v_addc_co_u32_e32 v3, vcc, v3, v5, vcc
	global_load_dword v23, v[2:3], off
	v_add_u32_e32 v2, 0x51028, v1
	v_ashrrev_i32_e32 v3, 31, v2
	v_lshlrev_b64 v[2:3], 2, v[2:3]
	v_mov_b32_e32 v21, s1
	v_add_co_u32_e32 v28, vcc, s0, v2
	v_addc_co_u32_e32 v29, vcc, v21, v3, vcc
	global_load_dword v21, v[28:29], off
	s_waitcnt vmcnt(9)
	v_mul_f32_e32 v20, 0x3fb8aa3b, v20
	v_exp_f32_e32 v20, v20
	v_cmp_eq_u32_e32 vcc, 31, v0
	v_fma_f32 v28, -v19, v20, v18
	v_mul_f32_e64 v20, v19, -v20
	v_cndmask_b32_e32 v20, v20, v28, vcc
	global_store_dword v[16:17], v20, off
	v_mov_b32_e32 v16, s15
	v_add_co_u32_e32 v8, vcc, s14, v8
	v_addc_co_u32_e32 v9, vcc, v16, v9, vcc
	v_cmp_eq_u32_e32 vcc, 32, v0
	s_waitcnt vmcnt(8)
	v_mul_f32_e32 v16, 0x3fb8aa3b, v22
	v_exp_f32_e32 v16, v16
	v_fma_f32 v17, -v19, v16, v18
	v_mul_f32_e64 v16, v19, -v16
	v_cndmask_b32_e32 v16, v16, v17, vcc
	global_store_dword v[8:9], v16, off
	v_add_co_u32_e32 v8, vcc, s14, v14
	v_mov_b32_e32 v9, s15
	s_waitcnt vmcnt(7)
	v_mul_f32_e32 v14, 0x3fb8aa3b, v27
	v_exp_f32_e32 v14, v14
	v_addc_co_u32_e32 v9, vcc, v9, v15, vcc
	v_cmp_eq_u32_e32 vcc, 33, v0
	v_fma_f32 v15, -v19, v14, v18
	v_mul_f32_e64 v14, v19, -v14
	v_cndmask_b32_e32 v14, v14, v15, vcc
	global_store_dword v[8:9], v14, off
	s_waitcnt vmcnt(7)
	v_mul_f32_e32 v8, 0x3fb8aa3b, v26
	v_exp_f32_e32 v14, v8
	v_mov_b32_e32 v9, s15
	v_add_co_u32_e32 v8, vcc, s14, v12
	v_addc_co_u32_e32 v9, vcc, v9, v13, vcc
	v_fma_f32 v12, -v19, v14, v18
	v_mul_f32_e64 v13, v19, -v14
	v_cmp_eq_u32_e32 vcc, 34, v0
	v_cndmask_b32_e32 v12, v13, v12, vcc
	global_store_dword v[8:9], v12, off
	v_mov_b32_e32 v9, s15
	s_waitcnt vmcnt(7)
	v_mul_f32_e32 v8, 0x3fb8aa3b, v24
	v_exp_f32_e32 v12, v8
	v_add_co_u32_e32 v8, vcc, s14, v10
	v_addc_co_u32_e32 v9, vcc, v9, v11, vcc
	v_fma_f32 v10, -v19, v12, v18
	v_mul_f32_e64 v11, v19, -v12
	s_waitcnt vmcnt(6)
	v_mul_f32_e32 v12, 0x3fb8aa3b, v25
	v_exp_f32_e32 v12, v12
	v_cmp_eq_u32_e32 vcc, 35, v0
	v_cndmask_b32_e32 v10, v11, v10, vcc
	global_store_dword v[8:9], v10, off
	v_fma_f32 v8, -v19, v12, v18
	v_mul_f32_e64 v9, v19, -v12
	s_waitcnt vmcnt(6)
	v_mul_f32_e32 v10, 0x3fb8aa3b, v23
	v_exp_f32_e32 v10, v10
	v_cmp_eq_u32_e32 vcc, 36, v0
	v_cndmask_b32_e32 v8, v9, v8, vcc
	v_mov_b32_e32 v9, s15
	v_add_co_u32_e32 v6, vcc, s14, v6
	v_addc_co_u32_e32 v7, vcc, v9, v7, vcc
	global_store_dword v[6:7], v8, off
	v_fma_f32 v6, -v19, v10, v18
	v_mul_f32_e64 v7, v19, -v10
	v_cmp_eq_u32_e32 vcc, 37, v0
	v_cndmask_b32_e32 v10, v7, v6, vcc
	v_mov_b32_e32 v6, s15
	v_add_co_u32_e32 v4, vcc, s14, v4
	v_addc_co_u32_e32 v5, vcc, v6, v5, vcc
	s_waitcnt vmcnt(6)
	v_mul_f32_e32 v6, 0x3fb8aa3b, v21
	v_exp_f32_e32 v11, v6
	v_add_u32_e32 v6, 0x53244, v1
	v_ashrrev_i32_e32 v7, 31, v6
	v_lshlrev_b64 v[6:7], 2, v[6:7]
	v_mov_b32_e32 v9, s1
	v_add_co_u32_e32 v8, vcc, s0, v6
	v_addc_co_u32_e32 v9, vcc, v9, v7, vcc
	global_load_dword v20, v[8:9], off
	v_cmp_eq_u32_e32 vcc, 38, v0
	global_store_dword v[4:5], v10, off
	v_fma_f32 v4, -v19, v11, v18
	v_mul_f32_e64 v5, v19, -v11
	v_cndmask_b32_e32 v10, v5, v4, vcc
	v_add_u32_e32 v4, 0x55460, v1
	v_ashrrev_i32_e32 v5, 31, v4
	v_lshlrev_b64 v[8:9], 2, v[4:5]
	v_mov_b32_e32 v5, s1
	v_add_co_u32_e32 v4, vcc, s0, v8
	v_addc_co_u32_e32 v5, vcc, v5, v9, vcc
	v_mov_b32_e32 v11, s15
	v_add_co_u32_e32 v2, vcc, s14, v2
	global_load_dword v22, v[4:5], off
	v_addc_co_u32_e32 v3, vcc, v11, v3, vcc
	global_store_dword v[2:3], v10, off
	v_add_u32_e32 v2, 0x5767c, v1
	v_ashrrev_i32_e32 v3, 31, v2
	v_lshlrev_b64 v[14:15], 2, v[2:3]
	v_mov_b32_e32 v3, s1
	v_add_co_u32_e32 v2, vcc, s0, v14
	v_addc_co_u32_e32 v3, vcc, v3, v15, vcc
	global_load_dword v27, v[2:3], off
	v_add_u32_e32 v2, 0x59898, v1
	v_ashrrev_i32_e32 v3, 31, v2
	v_lshlrev_b64 v[12:13], 2, v[2:3]
	v_mov_b32_e32 v3, s1
	v_add_co_u32_e32 v2, vcc, s0, v12
	v_addc_co_u32_e32 v3, vcc, v3, v13, vcc
	global_load_dword v26, v[2:3], off
	v_add_u32_e32 v2, 0x5bab4, v1
	v_mov_b32_e32 v4, s15
	v_add_co_u32_e32 v16, vcc, s14, v6
	v_ashrrev_i32_e32 v3, 31, v2
	v_addc_co_u32_e32 v17, vcc, v4, v7, vcc
	v_lshlrev_b64 v[10:11], 2, v[2:3]
	v_add_u32_e32 v4, 0x5dcd0, v1
	v_ashrrev_i32_e32 v5, 31, v4
	v_mov_b32_e32 v3, s1
	v_add_co_u32_e32 v2, vcc, s0, v10
	v_lshlrev_b64 v[6:7], 2, v[4:5]
	v_addc_co_u32_e32 v3, vcc, v3, v11, vcc
	global_load_dword v24, v[2:3], off
	v_mov_b32_e32 v3, s1
	v_add_co_u32_e32 v2, vcc, s0, v6
	v_addc_co_u32_e32 v3, vcc, v3, v7, vcc
	global_load_dword v25, v[2:3], off
	v_add_u32_e32 v2, 0x5feec, v1
	v_ashrrev_i32_e32 v3, 31, v2
	v_lshlrev_b64 v[4:5], 2, v[2:3]
	v_mov_b32_e32 v3, s1
	v_add_co_u32_e32 v2, vcc, s0, v4
	v_addc_co_u32_e32 v3, vcc, v3, v5, vcc
	global_load_dword v23, v[2:3], off
	v_add_u32_e32 v2, 0x62108, v1
	v_ashrrev_i32_e32 v3, 31, v2
	v_lshlrev_b64 v[2:3], 2, v[2:3]
	v_mov_b32_e32 v21, s1
	v_add_co_u32_e32 v28, vcc, s0, v2
	v_addc_co_u32_e32 v29, vcc, v21, v3, vcc
	global_load_dword v21, v[28:29], off
	s_waitcnt vmcnt(9)
	v_mul_f32_e32 v20, 0x3fb8aa3b, v20
	v_exp_f32_e32 v20, v20
	v_cmp_eq_u32_e32 vcc, 39, v0
	v_fma_f32 v28, -v19, v20, v18
	v_mul_f32_e64 v20, v19, -v20
	v_cndmask_b32_e32 v20, v20, v28, vcc
	global_store_dword v[16:17], v20, off
	v_mov_b32_e32 v16, s15
	v_add_co_u32_e32 v8, vcc, s14, v8
	v_addc_co_u32_e32 v9, vcc, v16, v9, vcc
	v_cmp_eq_u32_e32 vcc, 40, v0
	s_waitcnt vmcnt(8)
	v_mul_f32_e32 v16, 0x3fb8aa3b, v22
	v_exp_f32_e32 v16, v16
	v_fma_f32 v17, -v19, v16, v18
	v_mul_f32_e64 v16, v19, -v16
	v_cndmask_b32_e32 v16, v16, v17, vcc
	global_store_dword v[8:9], v16, off
	v_add_co_u32_e32 v8, vcc, s14, v14
	v_mov_b32_e32 v9, s15
	s_waitcnt vmcnt(7)
	v_mul_f32_e32 v14, 0x3fb8aa3b, v27
	v_exp_f32_e32 v14, v14
	v_addc_co_u32_e32 v9, vcc, v9, v15, vcc
	v_cmp_eq_u32_e32 vcc, 41, v0
	v_fma_f32 v15, -v19, v14, v18
	v_mul_f32_e64 v14, v19, -v14
	v_cndmask_b32_e32 v14, v14, v15, vcc
	global_store_dword v[8:9], v14, off
	s_waitcnt vmcnt(7)
	v_mul_f32_e32 v8, 0x3fb8aa3b, v26
	v_exp_f32_e32 v14, v8
	v_mov_b32_e32 v9, s15
	v_add_co_u32_e32 v8, vcc, s14, v12
	v_addc_co_u32_e32 v9, vcc, v9, v13, vcc
	v_fma_f32 v12, -v19, v14, v18
	v_mul_f32_e64 v13, v19, -v14
	v_cmp_eq_u32_e32 vcc, 42, v0
	v_cndmask_b32_e32 v12, v13, v12, vcc
	global_store_dword v[8:9], v12, off
	v_mov_b32_e32 v9, s15
	s_waitcnt vmcnt(7)
	v_mul_f32_e32 v8, 0x3fb8aa3b, v24
	v_exp_f32_e32 v12, v8
	v_add_co_u32_e32 v8, vcc, s14, v10
	v_addc_co_u32_e32 v9, vcc, v9, v11, vcc
	v_fma_f32 v10, -v19, v12, v18
	v_mul_f32_e64 v11, v19, -v12
	s_waitcnt vmcnt(6)
	v_mul_f32_e32 v12, 0x3fb8aa3b, v25
	v_exp_f32_e32 v12, v12
	v_cmp_eq_u32_e32 vcc, 43, v0
	v_cndmask_b32_e32 v10, v11, v10, vcc
	global_store_dword v[8:9], v10, off
	v_fma_f32 v8, -v19, v12, v18
	v_mul_f32_e64 v9, v19, -v12
	s_waitcnt vmcnt(6)
	v_mul_f32_e32 v10, 0x3fb8aa3b, v23
	v_exp_f32_e32 v10, v10
	v_cmp_eq_u32_e32 vcc, 44, v0
	v_cndmask_b32_e32 v8, v9, v8, vcc
	v_mov_b32_e32 v9, s15
	v_add_co_u32_e32 v6, vcc, s14, v6
	v_addc_co_u32_e32 v7, vcc, v9, v7, vcc
	global_store_dword v[6:7], v8, off
	v_fma_f32 v6, -v19, v10, v18
	v_mul_f32_e64 v7, v19, -v10
	v_cmp_eq_u32_e32 vcc, 45, v0
	v_cndmask_b32_e32 v10, v7, v6, vcc
	v_mov_b32_e32 v6, s15
	v_add_co_u32_e32 v4, vcc, s14, v4
	v_addc_co_u32_e32 v5, vcc, v6, v5, vcc
	s_waitcnt vmcnt(6)
	v_mul_f32_e32 v6, 0x3fb8aa3b, v21
	v_exp_f32_e32 v11, v6
	v_add_u32_e32 v6, 0x64324, v1
	v_ashrrev_i32_e32 v7, 31, v6
	v_lshlrev_b64 v[6:7], 2, v[6:7]
	v_mov_b32_e32 v9, s1
	v_add_co_u32_e32 v8, vcc, s0, v6
	v_addc_co_u32_e32 v9, vcc, v9, v7, vcc
	global_load_dword v20, v[8:9], off
	v_cmp_eq_u32_e32 vcc, 46, v0
	global_store_dword v[4:5], v10, off
	v_fma_f32 v4, -v19, v11, v18
	v_mul_f32_e64 v5, v19, -v11
	v_cndmask_b32_e32 v10, v5, v4, vcc
	v_add_u32_e32 v4, 0x66540, v1
	v_ashrrev_i32_e32 v5, 31, v4
	v_lshlrev_b64 v[8:9], 2, v[4:5]
	v_mov_b32_e32 v5, s1
	v_add_co_u32_e32 v4, vcc, s0, v8
	v_addc_co_u32_e32 v5, vcc, v5, v9, vcc
	v_mov_b32_e32 v11, s15
	v_add_co_u32_e32 v2, vcc, s14, v2
	global_load_dword v22, v[4:5], off
	v_addc_co_u32_e32 v3, vcc, v11, v3, vcc
	global_store_dword v[2:3], v10, off
	v_add_u32_e32 v2, 0x6875c, v1
	v_ashrrev_i32_e32 v3, 31, v2
	v_lshlrev_b64 v[14:15], 2, v[2:3]
	v_mov_b32_e32 v3, s1
	v_add_co_u32_e32 v2, vcc, s0, v14
	v_addc_co_u32_e32 v3, vcc, v3, v15, vcc
	global_load_dword v27, v[2:3], off
	v_add_u32_e32 v2, 0x6a978, v1
	v_ashrrev_i32_e32 v3, 31, v2
	v_lshlrev_b64 v[12:13], 2, v[2:3]
	v_mov_b32_e32 v3, s1
	v_add_co_u32_e32 v2, vcc, s0, v12
	v_addc_co_u32_e32 v3, vcc, v3, v13, vcc
	global_load_dword v26, v[2:3], off
	v_add_u32_e32 v2, 0x6cb94, v1
	v_mov_b32_e32 v4, s15
	v_add_co_u32_e32 v16, vcc, s14, v6
	v_ashrrev_i32_e32 v3, 31, v2
	v_addc_co_u32_e32 v17, vcc, v4, v7, vcc
	v_lshlrev_b64 v[10:11], 2, v[2:3]
	v_add_u32_e32 v4, 0x6edb0, v1
	v_ashrrev_i32_e32 v5, 31, v4
	v_mov_b32_e32 v3, s1
	v_add_co_u32_e32 v2, vcc, s0, v10
	v_lshlrev_b64 v[6:7], 2, v[4:5]
	v_addc_co_u32_e32 v3, vcc, v3, v11, vcc
	global_load_dword v24, v[2:3], off
	v_mov_b32_e32 v3, s1
	v_add_co_u32_e32 v2, vcc, s0, v6
	v_addc_co_u32_e32 v3, vcc, v3, v7, vcc
	global_load_dword v25, v[2:3], off
	v_add_u32_e32 v2, 0x70fcc, v1
	v_ashrrev_i32_e32 v3, 31, v2
	v_lshlrev_b64 v[4:5], 2, v[2:3]
	v_mov_b32_e32 v3, s1
	v_add_co_u32_e32 v2, vcc, s0, v4
	v_addc_co_u32_e32 v3, vcc, v3, v5, vcc
	global_load_dword v23, v[2:3], off
	v_add_u32_e32 v2, 0x731e8, v1
	v_ashrrev_i32_e32 v3, 31, v2
	v_lshlrev_b64 v[2:3], 2, v[2:3]
	v_mov_b32_e32 v21, s1
	v_add_co_u32_e32 v28, vcc, s0, v2
	v_addc_co_u32_e32 v29, vcc, v21, v3, vcc
	global_load_dword v21, v[28:29], off
	s_waitcnt vmcnt(9)
	v_mul_f32_e32 v20, 0x3fb8aa3b, v20
	v_exp_f32_e32 v20, v20
	v_cmp_eq_u32_e32 vcc, 47, v0
	v_fma_f32 v28, -v19, v20, v18
	v_mul_f32_e64 v20, v19, -v20
	v_cndmask_b32_e32 v20, v20, v28, vcc
	global_store_dword v[16:17], v20, off
	v_mov_b32_e32 v16, s15
	v_add_co_u32_e32 v8, vcc, s14, v8
	v_addc_co_u32_e32 v9, vcc, v16, v9, vcc
	v_cmp_eq_u32_e32 vcc, 48, v0
	s_waitcnt vmcnt(8)
	v_mul_f32_e32 v16, 0x3fb8aa3b, v22
	v_exp_f32_e32 v16, v16
	v_fma_f32 v17, -v19, v16, v18
	v_mul_f32_e64 v16, v19, -v16
	v_cndmask_b32_e32 v16, v16, v17, vcc
	global_store_dword v[8:9], v16, off
	v_add_co_u32_e32 v8, vcc, s14, v14
	v_mov_b32_e32 v9, s15
	s_waitcnt vmcnt(7)
	v_mul_f32_e32 v14, 0x3fb8aa3b, v27
	v_exp_f32_e32 v14, v14
	v_addc_co_u32_e32 v9, vcc, v9, v15, vcc
	v_cmp_eq_u32_e32 vcc, 49, v0
	v_fma_f32 v15, -v19, v14, v18
	v_mul_f32_e64 v14, v19, -v14
	v_cndmask_b32_e32 v14, v14, v15, vcc
	global_store_dword v[8:9], v14, off
	s_waitcnt vmcnt(7)
	v_mul_f32_e32 v8, 0x3fb8aa3b, v26
	v_exp_f32_e32 v14, v8
	v_mov_b32_e32 v9, s15
	v_add_co_u32_e32 v8, vcc, s14, v12
	v_addc_co_u32_e32 v9, vcc, v9, v13, vcc
	v_fma_f32 v12, -v19, v14, v18
	v_mul_f32_e64 v13, v19, -v14
	v_cmp_eq_u32_e32 vcc, 50, v0
	v_cndmask_b32_e32 v12, v13, v12, vcc
	global_store_dword v[8:9], v12, off
	v_mov_b32_e32 v9, s15
	s_waitcnt vmcnt(7)
	v_mul_f32_e32 v8, 0x3fb8aa3b, v24
	v_exp_f32_e32 v12, v8
	v_add_co_u32_e32 v8, vcc, s14, v10
	v_addc_co_u32_e32 v9, vcc, v9, v11, vcc
	v_fma_f32 v10, -v19, v12, v18
	v_mul_f32_e64 v11, v19, -v12
	s_waitcnt vmcnt(6)
	v_mul_f32_e32 v12, 0x3fb8aa3b, v25
	v_exp_f32_e32 v12, v12
	v_cmp_eq_u32_e32 vcc, 51, v0
	v_cndmask_b32_e32 v10, v11, v10, vcc
	global_store_dword v[8:9], v10, off
	v_fma_f32 v8, -v19, v12, v18
	v_mul_f32_e64 v9, v19, -v12
	s_waitcnt vmcnt(6)
	v_mul_f32_e32 v10, 0x3fb8aa3b, v23
	v_exp_f32_e32 v10, v10
	v_cmp_eq_u32_e32 vcc, 52, v0
	v_cndmask_b32_e32 v8, v9, v8, vcc
	v_mov_b32_e32 v9, s15
	v_add_co_u32_e32 v6, vcc, s14, v6
	v_addc_co_u32_e32 v7, vcc, v9, v7, vcc
	global_store_dword v[6:7], v8, off
	v_fma_f32 v6, -v19, v10, v18
	v_mul_f32_e64 v7, v19, -v10
	v_cmp_eq_u32_e32 vcc, 53, v0
	v_cndmask_b32_e32 v10, v7, v6, vcc
	v_mov_b32_e32 v6, s15
	v_add_co_u32_e32 v4, vcc, s14, v4
	v_addc_co_u32_e32 v5, vcc, v6, v5, vcc
	s_waitcnt vmcnt(6)
	v_mul_f32_e32 v6, 0x3fb8aa3b, v21
	v_exp_f32_e32 v11, v6
	v_add_u32_e32 v6, 0x75404, v1
	v_ashrrev_i32_e32 v7, 31, v6
	v_lshlrev_b64 v[6:7], 2, v[6:7]
	v_mov_b32_e32 v9, s1
	v_add_co_u32_e32 v8, vcc, s0, v6
	v_addc_co_u32_e32 v9, vcc, v9, v7, vcc
	global_load_dword v20, v[8:9], off
	v_cmp_eq_u32_e32 vcc, 54, v0
	global_store_dword v[4:5], v10, off
	v_fma_f32 v4, -v19, v11, v18
	v_mul_f32_e64 v5, v19, -v11
	v_cndmask_b32_e32 v10, v5, v4, vcc
	v_add_u32_e32 v4, 0x77620, v1
	v_ashrrev_i32_e32 v5, 31, v4
	v_lshlrev_b64 v[8:9], 2, v[4:5]
	v_mov_b32_e32 v5, s1
	v_add_co_u32_e32 v4, vcc, s0, v8
	v_addc_co_u32_e32 v5, vcc, v5, v9, vcc
	v_mov_b32_e32 v11, s15
	v_add_co_u32_e32 v2, vcc, s14, v2
	global_load_dword v22, v[4:5], off
	v_addc_co_u32_e32 v3, vcc, v11, v3, vcc
	global_store_dword v[2:3], v10, off
	v_add_u32_e32 v2, 0x7983c, v1
	v_ashrrev_i32_e32 v3, 31, v2
	v_lshlrev_b64 v[14:15], 2, v[2:3]
	v_mov_b32_e32 v3, s1
	v_add_co_u32_e32 v2, vcc, s0, v14
	v_addc_co_u32_e32 v3, vcc, v3, v15, vcc
	global_load_dword v27, v[2:3], off
	v_add_u32_e32 v2, 0x7ba58, v1
	v_ashrrev_i32_e32 v3, 31, v2
	v_lshlrev_b64 v[12:13], 2, v[2:3]
	v_mov_b32_e32 v3, s1
	v_add_co_u32_e32 v2, vcc, s0, v12
	v_addc_co_u32_e32 v3, vcc, v3, v13, vcc
	global_load_dword v26, v[2:3], off
	v_add_u32_e32 v2, 0x7dc74, v1
	v_mov_b32_e32 v4, s15
	v_add_co_u32_e32 v16, vcc, s14, v6
	v_ashrrev_i32_e32 v3, 31, v2
	v_addc_co_u32_e32 v17, vcc, v4, v7, vcc
	v_lshlrev_b64 v[10:11], 2, v[2:3]
	v_add_u32_e32 v4, 0x7fe90, v1
	v_ashrrev_i32_e32 v5, 31, v4
	v_mov_b32_e32 v3, s1
	v_add_co_u32_e32 v2, vcc, s0, v10
	v_lshlrev_b64 v[6:7], 2, v[4:5]
	v_addc_co_u32_e32 v3, vcc, v3, v11, vcc
	global_load_dword v24, v[2:3], off
	v_mov_b32_e32 v3, s1
	v_add_co_u32_e32 v2, vcc, s0, v6
	v_addc_co_u32_e32 v3, vcc, v3, v7, vcc
	global_load_dword v25, v[2:3], off
	v_add_u32_e32 v2, 0x820ac, v1
	v_ashrrev_i32_e32 v3, 31, v2
	v_lshlrev_b64 v[4:5], 2, v[2:3]
	v_mov_b32_e32 v3, s1
	v_add_co_u32_e32 v2, vcc, s0, v4
	v_addc_co_u32_e32 v3, vcc, v3, v5, vcc
	global_load_dword v23, v[2:3], off
	v_add_u32_e32 v2, 0x842c8, v1
	v_ashrrev_i32_e32 v3, 31, v2
	v_lshlrev_b64 v[2:3], 2, v[2:3]
	v_mov_b32_e32 v21, s1
	v_add_co_u32_e32 v28, vcc, s0, v2
	v_addc_co_u32_e32 v29, vcc, v21, v3, vcc
	global_load_dword v21, v[28:29], off
	s_waitcnt vmcnt(9)
	v_mul_f32_e32 v20, 0x3fb8aa3b, v20
	v_exp_f32_e32 v20, v20
	v_cmp_eq_u32_e32 vcc, 55, v0
	v_fma_f32 v28, -v19, v20, v18
	v_mul_f32_e64 v20, v19, -v20
	v_cndmask_b32_e32 v20, v20, v28, vcc
	global_store_dword v[16:17], v20, off
	v_mov_b32_e32 v16, s15
	v_add_co_u32_e32 v8, vcc, s14, v8
	v_addc_co_u32_e32 v9, vcc, v16, v9, vcc
	v_cmp_eq_u32_e32 vcc, 56, v0
	s_waitcnt vmcnt(8)
	v_mul_f32_e32 v16, 0x3fb8aa3b, v22
	v_exp_f32_e32 v16, v16
	v_fma_f32 v17, -v19, v16, v18
	v_mul_f32_e64 v16, v19, -v16
	v_cndmask_b32_e32 v16, v16, v17, vcc
	global_store_dword v[8:9], v16, off
	v_add_co_u32_e32 v8, vcc, s14, v14
	v_mov_b32_e32 v9, s15
	s_waitcnt vmcnt(7)
	v_mul_f32_e32 v14, 0x3fb8aa3b, v27
	v_exp_f32_e32 v14, v14
	v_addc_co_u32_e32 v9, vcc, v9, v15, vcc
	v_cmp_eq_u32_e32 vcc, 57, v0
	v_fma_f32 v15, -v19, v14, v18
	v_mul_f32_e64 v14, v19, -v14
	v_cndmask_b32_e32 v14, v14, v15, vcc
	global_store_dword v[8:9], v14, off
	s_waitcnt vmcnt(7)
	v_mul_f32_e32 v8, 0x3fb8aa3b, v26
	v_exp_f32_e32 v14, v8
	v_mov_b32_e32 v9, s15
	v_add_co_u32_e32 v8, vcc, s14, v12
	v_addc_co_u32_e32 v9, vcc, v9, v13, vcc
	v_fma_f32 v12, -v19, v14, v18
	v_mul_f32_e64 v13, v19, -v14
	v_cmp_eq_u32_e32 vcc, 58, v0
	v_cndmask_b32_e32 v12, v13, v12, vcc
	global_store_dword v[8:9], v12, off
	v_mov_b32_e32 v9, s15
	s_waitcnt vmcnt(7)
	v_mul_f32_e32 v8, 0x3fb8aa3b, v24
	v_exp_f32_e32 v12, v8
	v_add_co_u32_e32 v8, vcc, s14, v10
	v_addc_co_u32_e32 v9, vcc, v9, v11, vcc
	v_fma_f32 v10, -v19, v12, v18
	v_mul_f32_e64 v11, v19, -v12
	s_waitcnt vmcnt(6)
	v_mul_f32_e32 v12, 0x3fb8aa3b, v25
	v_exp_f32_e32 v12, v12
	v_cmp_eq_u32_e32 vcc, 59, v0
	v_cndmask_b32_e32 v10, v11, v10, vcc
	global_store_dword v[8:9], v10, off
	v_fma_f32 v8, -v19, v12, v18
	v_mul_f32_e64 v9, v19, -v12
	s_waitcnt vmcnt(6)
	v_mul_f32_e32 v10, 0x3fb8aa3b, v23
	v_exp_f32_e32 v10, v10
	v_cmp_eq_u32_e32 vcc, 60, v0
	v_cndmask_b32_e32 v8, v9, v8, vcc
	v_mov_b32_e32 v9, s15
	v_add_co_u32_e32 v6, vcc, s14, v6
	v_addc_co_u32_e32 v7, vcc, v9, v7, vcc
	global_store_dword v[6:7], v8, off
	v_fma_f32 v6, -v19, v10, v18
	v_mul_f32_e64 v7, v19, -v10
	v_cmp_eq_u32_e32 vcc, 61, v0
	v_cndmask_b32_e32 v10, v7, v6, vcc
	v_mov_b32_e32 v6, s15
	v_add_co_u32_e32 v4, vcc, s14, v4
	v_addc_co_u32_e32 v5, vcc, v6, v5, vcc
	s_waitcnt vmcnt(6)
	v_mul_f32_e32 v6, 0x3fb8aa3b, v21
	v_exp_f32_e32 v11, v6
	v_add_u32_e32 v6, 0x864e4, v1
	v_ashrrev_i32_e32 v7, 31, v6
	v_lshlrev_b64 v[6:7], 2, v[6:7]
	v_mov_b32_e32 v9, s1
	v_add_co_u32_e32 v8, vcc, s0, v6
	v_addc_co_u32_e32 v9, vcc, v9, v7, vcc
	global_load_dword v20, v[8:9], off
	v_cmp_eq_u32_e32 vcc, 62, v0
	global_store_dword v[4:5], v10, off
	v_fma_f32 v4, -v19, v11, v18
	v_mul_f32_e64 v5, v19, -v11
	v_cndmask_b32_e32 v10, v5, v4, vcc
	v_add_u32_e32 v4, 0x88700, v1
	v_ashrrev_i32_e32 v5, 31, v4
	v_lshlrev_b64 v[8:9], 2, v[4:5]
	v_mov_b32_e32 v5, s1
	v_add_co_u32_e32 v4, vcc, s0, v8
	v_addc_co_u32_e32 v5, vcc, v5, v9, vcc
	v_mov_b32_e32 v11, s15
	v_add_co_u32_e32 v2, vcc, s14, v2
	global_load_dword v22, v[4:5], off
	v_addc_co_u32_e32 v3, vcc, v11, v3, vcc
	global_store_dword v[2:3], v10, off
	v_add_u32_e32 v2, 0x8a91c, v1
	v_ashrrev_i32_e32 v3, 31, v2
	v_lshlrev_b64 v[14:15], 2, v[2:3]
	v_mov_b32_e32 v3, s1
	v_add_co_u32_e32 v2, vcc, s0, v14
	v_addc_co_u32_e32 v3, vcc, v3, v15, vcc
	global_load_dword v26, v[2:3], off
	v_add_u32_e32 v2, 0x8cb38, v1
	v_ashrrev_i32_e32 v3, 31, v2
	v_lshlrev_b64 v[12:13], 2, v[2:3]
	v_mov_b32_e32 v3, s1
	v_add_co_u32_e32 v2, vcc, s0, v12
	v_addc_co_u32_e32 v3, vcc, v3, v13, vcc
	global_load_dword v27, v[2:3], off
	v_add_u32_e32 v2, 0x8ed54, v1
	v_mov_b32_e32 v4, s15
	v_add_co_u32_e32 v16, vcc, s14, v6
	v_ashrrev_i32_e32 v3, 31, v2
	v_addc_co_u32_e32 v17, vcc, v4, v7, vcc
	v_lshlrev_b64 v[10:11], 2, v[2:3]
	v_add_u32_e32 v4, 0x90f70, v1
	v_ashrrev_i32_e32 v5, 31, v4
	v_mov_b32_e32 v3, s1
	v_add_co_u32_e32 v2, vcc, s0, v10
	v_lshlrev_b64 v[6:7], 2, v[4:5]
	v_addc_co_u32_e32 v3, vcc, v3, v11, vcc
	global_load_dword v25, v[2:3], off
	v_mov_b32_e32 v3, s1
	v_add_co_u32_e32 v2, vcc, s0, v6
	v_addc_co_u32_e32 v3, vcc, v3, v7, vcc
	global_load_dword v24, v[2:3], off
	v_add_u32_e32 v2, 0x9318c, v1
	v_ashrrev_i32_e32 v3, 31, v2
	v_lshlrev_b64 v[4:5], 2, v[2:3]
	v_mov_b32_e32 v3, s1
	v_add_co_u32_e32 v2, vcc, s0, v4
	v_addc_co_u32_e32 v3, vcc, v3, v5, vcc
	global_load_dword v23, v[2:3], off
	v_add_u32_e32 v2, 0x953a8, v1
	v_ashrrev_i32_e32 v3, 31, v2
	v_lshlrev_b64 v[2:3], 2, v[2:3]
	v_mov_b32_e32 v21, s1
	v_add_co_u32_e32 v28, vcc, s0, v2
	v_addc_co_u32_e32 v29, vcc, v21, v3, vcc
	global_load_dword v21, v[28:29], off
	s_waitcnt vmcnt(9)
	v_mul_f32_e32 v20, 0x3fb8aa3b, v20
	v_exp_f32_e32 v20, v20
	v_cmp_eq_u32_e32 vcc, 63, v0
	v_fma_f32 v28, -v19, v20, v18
	v_mul_f32_e64 v20, v19, -v20
	v_cndmask_b32_e32 v20, v20, v28, vcc
	global_store_dword v[16:17], v20, off
	v_mov_b32_e32 v16, s15
	v_add_co_u32_e32 v8, vcc, s14, v8
	v_addc_co_u32_e32 v9, vcc, v16, v9, vcc
	v_cmp_eq_u32_e32 vcc, 64, v0
	s_waitcnt vmcnt(8)
	v_mul_f32_e32 v16, 0x3fb8aa3b, v22
	v_exp_f32_e32 v16, v16
	v_mov_b32_e32 v22, s1
	v_fma_f32 v17, -v19, v16, v18
	v_mul_f32_e64 v16, v19, -v16
	v_cndmask_b32_e32 v16, v16, v17, vcc
	global_store_dword v[8:9], v16, off
	v_add_co_u32_e32 v8, vcc, s14, v14
	v_mov_b32_e32 v9, s15
	s_waitcnt vmcnt(7)
	v_mul_f32_e32 v14, 0x3fb8aa3b, v26
	v_exp_f32_e32 v14, v14
	v_addc_co_u32_e32 v9, vcc, v9, v15, vcc
	v_cmp_eq_u32_e32 vcc, s2, v0
	v_fma_f32 v15, -v19, v14, v18
	v_mul_f32_e64 v14, v19, -v14
	v_cndmask_b32_e32 v14, v14, v15, vcc
	global_store_dword v[8:9], v14, off
	s_waitcnt vmcnt(7)
	v_mul_f32_e32 v8, 0x3fb8aa3b, v27
	v_exp_f32_e32 v14, v8
	v_mov_b32_e32 v9, s15
	v_add_co_u32_e32 v8, vcc, s14, v12
	v_addc_co_u32_e32 v9, vcc, v9, v13, vcc
	s_movk_i32 s2, 0x42
	v_fma_f32 v12, -v19, v14, v18
	v_mul_f32_e64 v13, v19, -v14
	v_cmp_eq_u32_e32 vcc, s2, v0
	v_cndmask_b32_e32 v12, v13, v12, vcc
	global_store_dword v[8:9], v12, off
	v_mov_b32_e32 v9, s15
	s_movk_i32 s2, 0x43
	s_waitcnt vmcnt(7)
	v_mul_f32_e32 v8, 0x3fb8aa3b, v25
	v_exp_f32_e32 v12, v8
	v_add_co_u32_e32 v8, vcc, s14, v10
	v_addc_co_u32_e32 v9, vcc, v9, v11, vcc
	v_fma_f32 v10, -v19, v12, v18
	v_mul_f32_e64 v11, v19, -v12
	s_waitcnt vmcnt(6)
	v_mul_f32_e32 v12, 0x3fb8aa3b, v24
	v_exp_f32_e32 v12, v12
	v_cmp_eq_u32_e32 vcc, s2, v0
	v_cndmask_b32_e32 v10, v11, v10, vcc
	global_store_dword v[8:9], v10, off
	s_movk_i32 s2, 0x44
	v_fma_f32 v8, -v19, v12, v18
	s_waitcnt vmcnt(6)
	v_mul_f32_e32 v10, 0x3fb8aa3b, v23
	v_exp_f32_e32 v10, v10
	v_mul_f32_e64 v9, v19, -v12
	v_cmp_eq_u32_e32 vcc, s2, v0
	v_cndmask_b32_e32 v8, v9, v8, vcc
	v_mov_b32_e32 v9, s15
	v_add_co_u32_e32 v6, vcc, s14, v6
	v_addc_co_u32_e32 v7, vcc, v9, v7, vcc
	s_movk_i32 s2, 0x45
	global_store_dword v[6:7], v8, off
	v_fma_f32 v6, -v19, v10, v18
	v_mul_f32_e64 v7, v19, -v10
	v_cmp_eq_u32_e32 vcc, s2, v0
	v_cndmask_b32_e32 v6, v7, v6, vcc
	v_mov_b32_e32 v7, s15
	v_add_co_u32_e32 v4, vcc, s14, v4
	v_addc_co_u32_e32 v5, vcc, v7, v5, vcc
	global_store_dword v[4:5], v6, off
	s_waitcnt vmcnt(7)
	v_mul_f32_e32 v4, 0x3fb8aa3b, v21
	v_exp_f32_e32 v8, v4
	v_add_u32_e32 v4, 0x975c4, v1
	v_ashrrev_i32_e32 v5, 31, v4
	v_lshlrev_b64 v[4:5], 2, v[4:5]
	v_mov_b32_e32 v7, s1
	v_add_co_u32_e32 v6, vcc, s0, v4
	v_addc_co_u32_e32 v7, vcc, v7, v5, vcc
	s_movk_i32 s2, 0x46
	global_load_dword v23, v[6:7], off
	v_fma_f32 v6, -v19, v8, v18
	v_mul_f32_e64 v7, v19, -v8
	v_cmp_eq_u32_e32 vcc, s2, v0
	v_cndmask_b32_e32 v8, v7, v6, vcc
	v_add_u32_e32 v6, 0x997e0, v1
	v_ashrrev_i32_e32 v7, 31, v6
	v_lshlrev_b64 v[10:11], 2, v[6:7]
	v_mov_b32_e32 v7, s1
	v_add_co_u32_e32 v6, vcc, s0, v10
	v_addc_co_u32_e32 v7, vcc, v7, v11, vcc
	v_add_co_u32_e32 v2, vcc, s14, v2
	global_load_dword v24, v[6:7], off
	v_addc_co_u32_e32 v3, vcc, v9, v3, vcc
	global_store_dword v[2:3], v8, off
	v_add_u32_e32 v2, 0x9b9fc, v1
	v_ashrrev_i32_e32 v3, 31, v2
	v_lshlrev_b64 v[14:15], 2, v[2:3]
	v_mov_b32_e32 v3, s1
	v_add_co_u32_e32 v2, vcc, s0, v14
	v_addc_co_u32_e32 v3, vcc, v3, v15, vcc
	global_load_dword v27, v[2:3], off
	v_add_u32_e32 v2, 0x9dc18, v1
	v_ashrrev_i32_e32 v3, 31, v2
	v_lshlrev_b64 v[12:13], 2, v[2:3]
	v_mov_b32_e32 v3, s1
	v_add_co_u32_e32 v2, vcc, s0, v12
	v_addc_co_u32_e32 v3, vcc, v3, v13, vcc
	global_load_dword v26, v[2:3], off
	v_add_u32_e32 v2, 0x9fe34, v1
	v_ashrrev_i32_e32 v3, 31, v2
	v_mov_b32_e32 v6, s15
	v_add_co_u32_e32 v16, vcc, s14, v4
	v_lshlrev_b64 v[8:9], 2, v[2:3]
	v_addc_co_u32_e32 v17, vcc, v6, v5, vcc
	v_mov_b32_e32 v2, s1
	v_add_co_u32_e32 v20, vcc, s0, v8
	v_addc_co_u32_e32 v21, vcc, v2, v9, vcc
	v_add_u32_e32 v2, 0xa2050, v1
	v_ashrrev_i32_e32 v3, 31, v2
	v_lshlrev_b64 v[6:7], 2, v[2:3]
	v_mov_b32_e32 v2, s1
	v_add_co_u32_e32 v28, vcc, s0, v6
	v_addc_co_u32_e32 v29, vcc, v2, v7, vcc
	v_add_u32_e32 v2, 0xa426c, v1
	v_ashrrev_i32_e32 v3, 31, v2
	v_lshlrev_b64 v[4:5], 2, v[2:3]
	;; [unrolled: 6-line block ×3, first 2 shown]
	s_movk_i32 s2, 0x47
	v_add_co_u32_e32 v32, vcc, s0, v2
	v_addc_co_u32_e32 v33, vcc, v22, v3, vcc
	global_load_dword v25, v[20:21], off
	global_load_dword v22, v[28:29], off
	s_nop 0
	global_load_dword v21, v[30:31], off
	global_load_dword v20, v[32:33], off
	v_cmp_eq_u32_e32 vcc, s2, v0
	s_movk_i32 s2, 0x48
	s_waitcnt vmcnt(8)
	v_mul_f32_e32 v23, 0x3fb8aa3b, v23
	v_exp_f32_e32 v23, v23
	v_fma_f32 v28, -v19, v23, v18
	v_mul_f32_e64 v23, v19, -v23
	v_cndmask_b32_e32 v23, v23, v28, vcc
	global_store_dword v[16:17], v23, off
	v_mov_b32_e32 v16, s15
	v_add_co_u32_e32 v10, vcc, s14, v10
	v_addc_co_u32_e32 v11, vcc, v16, v11, vcc
	v_cmp_eq_u32_e32 vcc, s2, v0
	s_waitcnt vmcnt(8)
	v_mul_f32_e32 v16, 0x3fb8aa3b, v24
	v_exp_f32_e32 v16, v16
	s_movk_i32 s2, 0x49
	v_fma_f32 v17, -v19, v16, v18
	v_mul_f32_e64 v16, v19, -v16
	v_cndmask_b32_e32 v16, v16, v17, vcc
	global_store_dword v[10:11], v16, off
	v_add_co_u32_e32 v10, vcc, s14, v14
	v_mov_b32_e32 v11, s15
	s_waitcnt vmcnt(7)
	v_mul_f32_e32 v14, 0x3fb8aa3b, v27
	v_exp_f32_e32 v14, v14
	v_addc_co_u32_e32 v11, vcc, v11, v15, vcc
	v_cmp_eq_u32_e32 vcc, s2, v0
	v_fma_f32 v15, -v19, v14, v18
	v_mul_f32_e64 v14, v19, -v14
	v_cndmask_b32_e32 v14, v14, v15, vcc
	global_store_dword v[10:11], v14, off
	s_waitcnt vmcnt(7)
	v_mul_f32_e32 v10, 0x3fb8aa3b, v26
	v_exp_f32_e32 v14, v10
	v_mov_b32_e32 v11, s15
	v_add_co_u32_e32 v10, vcc, s14, v12
	v_addc_co_u32_e32 v11, vcc, v11, v13, vcc
	s_movk_i32 s2, 0x4a
	v_fma_f32 v12, -v19, v14, v18
	v_mul_f32_e64 v13, v19, -v14
	v_cmp_eq_u32_e32 vcc, s2, v0
	v_cndmask_b32_e32 v12, v13, v12, vcc
	global_store_dword v[10:11], v12, off
	v_add_u32_e32 v10, 0xa86a4, v1
	v_ashrrev_i32_e32 v11, 31, v10
	v_lshlrev_b64 v[10:11], 2, v[10:11]
	v_mov_b32_e32 v13, s1
	v_add_co_u32_e32 v12, vcc, s0, v10
	v_addc_co_u32_e32 v13, vcc, v13, v11, vcc
	v_mov_b32_e32 v14, s15
	global_load_dword v12, v[12:13], off
	v_add_co_u32_e32 v13, vcc, s14, v8
	v_add_u32_e32 v8, 0xaa8c0, v1
	v_addc_co_u32_e32 v14, vcc, v14, v9, vcc
	v_ashrrev_i32_e32 v9, 31, v8
	v_lshlrev_b64 v[8:9], 2, v[8:9]
	v_mov_b32_e32 v1, s1
	v_add_co_u32_e32 v15, vcc, s0, v8
	v_addc_co_u32_e32 v16, vcc, v1, v9, vcc
	global_load_dword v1, v[15:16], off
	s_waitcnt vmcnt(9)
	v_mul_f32_e32 v15, 0x3fb8aa3b, v25
	v_exp_f32_e32 v15, v15
	s_movk_i32 s0, 0x4b
	v_cmp_eq_u32_e32 vcc, s0, v0
	s_movk_i32 s0, 0x4c
	v_fma_f32 v16, -v19, v15, v18
	v_mul_f32_e64 v15, v19, -v15
	v_cndmask_b32_e32 v15, v15, v16, vcc
	global_store_dword v[13:14], v15, off
	s_waitcnt vmcnt(9)
	v_mul_f32_e32 v14, 0x3fb8aa3b, v22
	v_exp_f32_e32 v14, v14
	v_mov_b32_e32 v13, s15
	v_add_co_u32_e32 v6, vcc, s14, v6
	s_waitcnt vmcnt(8)
	v_mul_f32_e32 v15, 0x3fb8aa3b, v21
	v_addc_co_u32_e32 v7, vcc, v13, v7, vcc
	v_exp_f32_e32 v15, v15
	v_fma_f32 v13, -v19, v14, v18
	v_mul_f32_e64 v14, v19, -v14
	v_cmp_eq_u32_e32 vcc, s0, v0
	v_cndmask_b32_e32 v13, v14, v13, vcc
	global_store_dword v[6:7], v13, off
	s_movk_i32 s0, 0x4d
	s_waitcnt vmcnt(8)
	v_mul_f32_e32 v13, 0x3fb8aa3b, v20
	v_fma_f32 v6, -v19, v15, v18
	v_mul_f32_e64 v7, v19, -v15
	v_cmp_eq_u32_e32 vcc, s0, v0
	v_exp_f32_e32 v13, v13
	v_cndmask_b32_e32 v6, v7, v6, vcc
	v_mov_b32_e32 v7, s15
	v_add_co_u32_e32 v4, vcc, s14, v4
	v_addc_co_u32_e32 v5, vcc, v7, v5, vcc
	global_store_dword v[4:5], v6, off
	s_movk_i32 s0, 0x4e
	v_fma_f32 v4, -v19, v13, v18
	v_mul_f32_e64 v5, v19, -v13
	v_cmp_eq_u32_e32 vcc, s0, v0
	v_cndmask_b32_e32 v4, v5, v4, vcc
	v_mov_b32_e32 v5, s15
	v_add_co_u32_e32 v2, vcc, s14, v2
	v_addc_co_u32_e32 v3, vcc, v5, v3, vcc
	global_store_dword v[2:3], v4, off
	s_movk_i32 s0, 0x4f
	v_cmp_eq_u32_e32 vcc, s0, v0
	s_movk_i32 s0, 0x50
	s_waitcnt vmcnt(5)
	v_mul_f32_e32 v6, 0x3fb8aa3b, v12
	v_exp_f32_e32 v6, v6
	v_fma_f32 v2, -v19, v6, v18
	v_mul_f32_e64 v3, v19, -v6
	v_cndmask_b32_e32 v3, v3, v2, vcc
	v_mov_b32_e32 v2, s15
	s_waitcnt vmcnt(4)
	v_mul_f32_e32 v1, 0x3fb8aa3b, v1
	v_exp_f32_e32 v4, v1
	v_add_co_u32_e32 v1, vcc, s14, v10
	v_addc_co_u32_e32 v2, vcc, v2, v11, vcc
	global_store_dword v[1:2], v3, off
	v_fma_f32 v1, -v19, v4, v18
	v_mul_f32_e64 v2, v19, -v4
	v_cmp_eq_u32_e32 vcc, s0, v0
	v_cndmask_b32_e32 v2, v2, v1, vcc
	v_mov_b32_e32 v1, s15
	v_add_co_u32_e32 v0, vcc, s14, v8
	v_addc_co_u32_e32 v1, vcc, v1, v9, vcc
	global_store_dword v[0:1], v2, off
.LBB1_4:
	s_endpgm
	.section	.rodata,"a",@progbits
	.p2align	6, 0x0
	.amdhsa_kernel _Z8loss_bwdIffEvPKT_PKT0_S5_PKlS2_S7_PS3_
		.amdhsa_group_segment_fixed_size 0
		.amdhsa_private_segment_fixed_size 0
		.amdhsa_kernarg_size 56
		.amdhsa_user_sgpr_count 6
		.amdhsa_user_sgpr_private_segment_buffer 1
		.amdhsa_user_sgpr_dispatch_ptr 0
		.amdhsa_user_sgpr_queue_ptr 0
		.amdhsa_user_sgpr_kernarg_segment_ptr 1
		.amdhsa_user_sgpr_dispatch_id 0
		.amdhsa_user_sgpr_flat_scratch_init 0
		.amdhsa_user_sgpr_private_segment_size 0
		.amdhsa_uses_dynamic_stack 0
		.amdhsa_system_sgpr_private_segment_wavefront_offset 0
		.amdhsa_system_sgpr_workgroup_id_x 1
		.amdhsa_system_sgpr_workgroup_id_y 1
		.amdhsa_system_sgpr_workgroup_id_z 0
		.amdhsa_system_sgpr_workgroup_info 0
		.amdhsa_system_vgpr_workitem_id 0
		.amdhsa_next_free_vgpr 37
		.amdhsa_next_free_sgpr 16
		.amdhsa_reserve_vcc 1
		.amdhsa_reserve_flat_scratch 0
		.amdhsa_float_round_mode_32 0
		.amdhsa_float_round_mode_16_64 0
		.amdhsa_float_denorm_mode_32 3
		.amdhsa_float_denorm_mode_16_64 3
		.amdhsa_dx10_clamp 1
		.amdhsa_ieee_mode 1
		.amdhsa_fp16_overflow 0
		.amdhsa_exception_fp_ieee_invalid_op 0
		.amdhsa_exception_fp_denorm_src 0
		.amdhsa_exception_fp_ieee_div_zero 0
		.amdhsa_exception_fp_ieee_overflow 0
		.amdhsa_exception_fp_ieee_underflow 0
		.amdhsa_exception_fp_ieee_inexact 0
		.amdhsa_exception_int_div_zero 0
	.end_amdhsa_kernel
	.section	.text._Z8loss_bwdIffEvPKT_PKT0_S5_PKlS2_S7_PS3_,"axG",@progbits,_Z8loss_bwdIffEvPKT_PKT0_S5_PKlS2_S7_PS3_,comdat
.Lfunc_end1:
	.size	_Z8loss_bwdIffEvPKT_PKT0_S5_PKlS2_S7_PS3_, .Lfunc_end1-_Z8loss_bwdIffEvPKT_PKT0_S5_PKlS2_S7_PS3_
                                        ; -- End function
	.set _Z8loss_bwdIffEvPKT_PKT0_S5_PKlS2_S7_PS3_.num_vgpr, 37
	.set _Z8loss_bwdIffEvPKT_PKT0_S5_PKlS2_S7_PS3_.num_agpr, 0
	.set _Z8loss_bwdIffEvPKT_PKT0_S5_PKlS2_S7_PS3_.numbered_sgpr, 16
	.set _Z8loss_bwdIffEvPKT_PKT0_S5_PKlS2_S7_PS3_.num_named_barrier, 0
	.set _Z8loss_bwdIffEvPKT_PKT0_S5_PKlS2_S7_PS3_.private_seg_size, 0
	.set _Z8loss_bwdIffEvPKT_PKT0_S5_PKlS2_S7_PS3_.uses_vcc, 1
	.set _Z8loss_bwdIffEvPKT_PKT0_S5_PKlS2_S7_PS3_.uses_flat_scratch, 0
	.set _Z8loss_bwdIffEvPKT_PKT0_S5_PKlS2_S7_PS3_.has_dyn_sized_stack, 0
	.set _Z8loss_bwdIffEvPKT_PKT0_S5_PKlS2_S7_PS3_.has_recursion, 0
	.set _Z8loss_bwdIffEvPKT_PKT0_S5_PKlS2_S7_PS3_.has_indirect_call, 0
	.section	.AMDGPU.csdata,"",@progbits
; Kernel info:
; codeLenInByte = 8440
; TotalNumSgprs: 20
; NumVgprs: 37
; ScratchSize: 0
; MemoryBound: 0
; FloatMode: 240
; IeeeMode: 1
; LDSByteSize: 0 bytes/workgroup (compile time only)
; SGPRBlocks: 2
; VGPRBlocks: 9
; NumSGPRsForWavesPerEU: 20
; NumVGPRsForWavesPerEU: 37
; Occupancy: 6
; WaveLimiterHint : 1
; COMPUTE_PGM_RSRC2:SCRATCH_EN: 0
; COMPUTE_PGM_RSRC2:USER_SGPR: 6
; COMPUTE_PGM_RSRC2:TRAP_HANDLER: 0
; COMPUTE_PGM_RSRC2:TGID_X_EN: 1
; COMPUTE_PGM_RSRC2:TGID_Y_EN: 1
; COMPUTE_PGM_RSRC2:TGID_Z_EN: 0
; COMPUTE_PGM_RSRC2:TIDIG_COMP_CNT: 0
	.section	.text._Z8loss_bwdIddEvPKT_PKT0_S5_PKlS2_S7_PS3_,"axG",@progbits,_Z8loss_bwdIddEvPKT_PKT0_S5_PKlS2_S7_PS3_,comdat
	.protected	_Z8loss_bwdIddEvPKT_PKT0_S5_PKlS2_S7_PS3_ ; -- Begin function _Z8loss_bwdIddEvPKT_PKT0_S5_PKlS2_S7_PS3_
	.globl	_Z8loss_bwdIddEvPKT_PKT0_S5_PKlS2_S7_PS3_
	.p2align	8
	.type	_Z8loss_bwdIddEvPKT_PKT0_S5_PKlS2_S7_PS3_,@function
_Z8loss_bwdIddEvPKT_PKT0_S5_PKlS2_S7_PS3_: ; @_Z8loss_bwdIddEvPKT_PKT0_S5_PKlS2_S7_PS3_
; %bb.0:
	v_lshl_add_u32 v0, s6, 6, v0
	s_movk_i32 s0, 0x221c
	v_cmp_gt_i32_e32 vcc, s0, v0
	s_and_saveexec_b64 s[0:1], vcc
	s_cbranch_execz .LBB2_4
; %bb.1:
	s_load_dwordx4 s[16:19], s[4:5], 0x0
	s_load_dwordx8 s[8:15], s[4:5], 0x18
	s_mul_i32 s0, s7, 0x221c
	v_add_u32_e32 v2, s0, v0
	v_ashrrev_i32_e32 v3, 31, v2
	v_lshlrev_b64 v[3:4], 3, v[2:3]
	s_waitcnt lgkmcnt(0)
	v_mov_b32_e32 v1, s9
	v_add_co_u32_e32 v0, vcc, s8, v3
	v_addc_co_u32_e32 v1, vcc, v1, v4, vcc
	global_load_dwordx2 v[0:1], v[0:1], off
	s_waitcnt vmcnt(0)
	v_mov_b32_e32 v1, s13
	v_add_co_u32_e32 v5, vcc, s12, v3
	v_addc_co_u32_e32 v6, vcc, v1, v4, vcc
	global_load_dwordx2 v[8:9], v[5:6], off
	v_mov_b32_e32 v1, s19
	v_add_co_u32_e32 v5, vcc, s18, v3
	v_addc_co_u32_e32 v6, vcc, v1, v4, vcc
	global_load_dwordx2 v[6:7], v[5:6], off
	s_waitcnt vmcnt(1)
	v_cmp_ne_u64_e32 vcc, 0, v[8:9]
	s_and_saveexec_b64 s[0:1], vcc
	s_cbranch_execz .LBB2_3
; %bb.2:
	s_load_dwordx2 s[2:3], s[4:5], 0x10
	s_waitcnt lgkmcnt(0)
	v_mov_b32_e32 v1, s3
	v_add_co_u32_e32 v8, vcc, s2, v3
	v_addc_co_u32_e32 v9, vcc, v1, v4, vcc
	global_load_dwordx2 v[8:9], v[8:9], off
	s_waitcnt vmcnt(0)
	v_add_f64 v[6:7], v[6:7], v[8:9]
.LBB2_3:
	s_or_b64 exec, exec, s[0:1]
	s_mul_i32 s7, s7, 0xaa8c0
	v_add_u32_e32 v1, s7, v2
	s_movk_i32 s0, 0x221c
	v_mad_u64_u32 v[10:11], s[0:1], v0, s0, v[1:2]
	v_ashrrev_i32_e32 v2, 31, v1
	v_lshlrev_b64 v[12:13], 3, v[1:2]
	v_mov_b32_e32 v2, s17
	v_add_co_u32_e32 v8, vcc, s16, v12
	v_addc_co_u32_e32 v9, vcc, v2, v13, vcc
	global_load_dwordx2 v[14:15], v[8:9], off
	v_add_u32_e32 v8, 0x221c, v1
	v_ashrrev_i32_e32 v9, 31, v8
	v_add_u32_e32 v18, 0x4438, v1
	v_lshlrev_b64 v[16:17], 3, v[8:9]
	v_ashrrev_i32_e32 v19, 31, v18
	v_mov_b32_e32 v5, s17
	v_lshlrev_b64 v[8:9], 3, v[18:19]
	v_add_co_u32_e32 v20, vcc, s16, v16
	v_ashrrev_i32_e32 v11, 31, v10
	v_addc_co_u32_e32 v21, vcc, v5, v17, vcc
	v_mov_b32_e32 v23, s17
	v_add_co_u32_e32 v22, vcc, s16, v8
	v_lshlrev_b64 v[10:11], 3, v[10:11]
	s_mov_b32 s8, 0x652b82fe
	v_addc_co_u32_e32 v23, vcc, v23, v9, vcc
	s_mov_b32 s9, 0x3ff71547
	v_add_co_u32_e32 v24, vcc, s16, v10
	v_addc_co_u32_e32 v25, vcc, v2, v11, vcc
	global_load_dwordx2 v[18:19], v[20:21], off
	global_load_dwordx2 v[10:11], v[22:23], off
	global_load_dwordx2 v[26:27], v[24:25], off
	s_mov_b32 s12, 0xfefa39ef
	v_mov_b32_e32 v5, s11
	s_mov_b32 s13, 0xbfe62e42
	v_add_co_u32_e32 v2, vcc, s10, v3
	v_addc_co_u32_e32 v3, vcc, v5, v4, vcc
	s_mov_b32 s10, 0x3b39803f
	v_mov_b32_e32 v22, s15
	v_add_co_u32_e32 v12, vcc, s14, v12
	s_mov_b32 s11, 0xbc7abc9e
	v_addc_co_u32_e32 v13, vcc, v22, v13, vcc
	s_mov_b32 s0, 0xfca7ab0c
	s_mov_b32 s1, 0x3e928af3
	;; [unrolled: 1-line block ×10, first 2 shown]
	global_load_dwordx2 v[2:3], v[2:3], off
	s_mov_b32 s30, 0x1852b7b0
	s_mov_b32 s31, 0x3f56c16c
	;; [unrolled: 1-line block ×14, first 2 shown]
	v_mov_b32_e32 v28, s17
	s_waitcnt vmcnt(4)
	v_mul_f64 v[20:21], v[14:15], s[8:9]
	v_cmp_nlt_f64_e32 vcc, s[22:23], v[14:15]
	v_rndne_f64_e32 v[20:21], v[20:21]
	v_fma_f64 v[4:5], v[20:21], s[12:13], v[14:15]
	v_fma_f64 v[22:23], v[20:21], s[10:11], v[4:5]
	v_mov_b32_e32 v5, s1
	v_mov_b32_e32 v4, s0
	v_cvt_i32_f64_e32 v20, v[20:21]
	v_cmp_ngt_f64_e64 s[0:1], s[24:25], v[14:15]
	v_fma_f64 v[24:25], v[22:23], s[18:19], v[4:5]
	v_fma_f64 v[24:25], v[22:23], v[24:25], s[20:21]
	;; [unrolled: 1-line block ×3, first 2 shown]
	s_waitcnt vmcnt(0)
	v_mul_f64 v[2:3], v[2:3], -v[6:7]
	v_fma_f64 v[24:25], v[22:23], v[24:25], s[28:29]
	v_mul_f64 v[14:15], v[2:3], v[26:27]
	v_fma_f64 v[24:25], v[22:23], v[24:25], s[30:31]
	v_cvt_f32_f64_e32 v26, v[14:15]
	v_fma_f64 v[24:25], v[22:23], v[24:25], s[34:35]
	v_fma_f64 v[24:25], v[22:23], v[24:25], s[36:37]
	;; [unrolled: 1-line block ×4, first 2 shown]
	v_fma_f64 v[24:25], v[22:23], v[24:25], 1.0
	v_fma_f64 v[22:23], v[22:23], v[24:25], 1.0
	v_mov_b32_e32 v25, 0x7ff00000
	v_cvt_f32_f64_e32 v24, v[2:3]
	v_cvt_f64_f32_e32 v[2:3], v26
	v_ldexp_f64 v[20:21], v[22:23], v20
	v_mul_f64 v[22:23], v[18:19], s[8:9]
	v_cndmask_b32_e32 v21, v25, v21, vcc
	v_rndne_f64_e32 v[22:23], v[22:23]
	s_and_b64 vcc, s[0:1], vcc
	v_cndmask_b32_e64 v15, 0, v21, s[0:1]
	v_cndmask_b32_e32 v14, 0, v20, vcc
	v_mul_f64 v[14:15], v[14:15], v[2:3]
	v_cmp_eq_u32_e32 vcc, 0, v0
	v_cmp_ngt_f64_e64 s[0:1], s[24:25], v[18:19]
	v_fma_f64 v[6:7], v[22:23], s[12:13], v[18:19]
	v_cvt_f32_f64_e32 v26, v[14:15]
	v_fma_f64 v[6:7], v[22:23], s[10:11], v[6:7]
	v_fma_f64 v[20:21], v[6:7], s[18:19], v[4:5]
	;; [unrolled: 1-line block ×7, first 2 shown]
	v_sub_f32_e32 v20, v24, v26
	v_cndmask_b32_e64 v20, -v26, v20, vcc
	v_cvt_f64_f32_e32 v[20:21], v20
	v_cmp_nlt_f64_e32 vcc, s[22:23], v[18:19]
	global_store_dwordx2 v[12:13], v[20:21], off
	v_fma_f64 v[14:15], v[6:7], v[14:15], s[36:37]
	v_mul_f64 v[12:13], v[10:11], s[8:9]
	v_fma_f64 v[14:15], v[6:7], v[14:15], s[38:39]
	v_rndne_f64_e32 v[12:13], v[12:13]
	v_fma_f64 v[14:15], v[6:7], v[14:15], s[40:41]
	v_fma_f64 v[20:21], v[12:13], s[12:13], v[10:11]
	v_fma_f64 v[14:15], v[6:7], v[14:15], 1.0
	v_fma_f64 v[26:27], v[12:13], s[10:11], v[20:21]
	v_cvt_i32_f64_e32 v20, v[22:23]
	v_fma_f64 v[6:7], v[6:7], v[14:15], 1.0
	v_fma_f64 v[14:15], v[26:27], s[18:19], v[4:5]
	v_ldexp_f64 v[20:21], v[6:7], v20
	v_fma_f64 v[14:15], v[26:27], v[14:15], s[20:21]
	v_add_u32_e32 v6, 0x6654, v1
	v_ashrrev_i32_e32 v7, 31, v6
	v_lshlrev_b64 v[6:7], 3, v[6:7]
	v_cndmask_b32_e32 v21, v25, v21, vcc
	v_fma_f64 v[14:15], v[26:27], v[14:15], s[26:27]
	s_and_b64 vcc, s[0:1], vcc
	v_fma_f64 v[14:15], v[26:27], v[14:15], s[28:29]
	v_fma_f64 v[14:15], v[26:27], v[14:15], s[30:31]
	v_fma_f64 v[14:15], v[26:27], v[14:15], s[34:35]
	v_fma_f64 v[14:15], v[26:27], v[14:15], s[36:37]
	v_fma_f64 v[14:15], v[26:27], v[14:15], s[38:39]
	v_fma_f64 v[14:15], v[26:27], v[14:15], s[40:41]
	v_fma_f64 v[14:15], v[26:27], v[14:15], 1.0
	v_fma_f64 v[22:23], v[26:27], v[14:15], 1.0
	v_add_co_u32_e64 v14, s[2:3], s16, v6
	v_addc_co_u32_e64 v15, s[2:3], v28, v7, s[2:3]
	global_load_dwordx2 v[14:15], v[14:15], off
	v_cvt_i32_f64_e32 v27, v[12:13]
	v_cndmask_b32_e64 v13, 0, v21, s[0:1]
	v_cndmask_b32_e32 v12, 0, v20, vcc
	v_mul_f64 v[18:19], v[12:13], v[2:3]
	v_mov_b32_e32 v26, s15
	v_add_co_u32_e32 v16, vcc, s14, v16
	v_addc_co_u32_e32 v17, vcc, v26, v17, vcc
	v_cmp_eq_u32_e64 s[0:1], 1, v0
	v_ldexp_f64 v[12:13], v[22:23], v27
	v_cvt_f32_f64_e32 v18, v[18:19]
	v_cmp_nlt_f64_e32 vcc, s[22:23], v[10:11]
	v_mov_b32_e32 v20, s15
	v_mov_b32_e32 v22, s15
	v_sub_f32_e32 v19, v24, v18
	v_cndmask_b32_e64 v18, -v18, v19, s[0:1]
	v_cmp_ngt_f64_e64 s[0:1], s[24:25], v[10:11]
	v_cvt_f64_f32_e32 v[18:19], v18
	v_add_u32_e32 v10, 0x8870, v1
	v_cndmask_b32_e32 v13, v25, v13, vcc
	v_ashrrev_i32_e32 v11, 31, v10
	global_store_dwordx2 v[16:17], v[18:19], off
	v_add_co_u32_e64 v16, s[2:3], s14, v8
	s_and_b64 vcc, s[0:1], vcc
	v_addc_co_u32_e64 v17, s[2:3], v20, v9, s[2:3]
	v_cndmask_b32_e64 v9, 0, v13, s[0:1]
	v_cndmask_b32_e32 v8, 0, v12, vcc
	v_mul_f64 v[12:13], v[8:9], v[2:3]
	v_add_co_u32_e32 v26, vcc, s14, v6
	v_addc_co_u32_e32 v27, vcc, v22, v7, vcc
	v_lshlrev_b64 v[8:9], 3, v[10:11]
	v_mov_b32_e32 v21, s17
	v_add_co_u32_e32 v20, vcc, s16, v8
	v_cvt_f32_f64_e32 v7, v[12:13]
	v_addc_co_u32_e32 v21, vcc, v21, v9, vcc
	v_cmp_eq_u32_e32 vcc, 2, v0
	v_sub_f32_e32 v10, v24, v7
	v_cndmask_b32_e64 v7, -v7, v10, vcc
	v_add_u32_e32 v18, 0xaa8c, v1
	v_cvt_f64_f32_e32 v[12:13], v7
	v_ashrrev_i32_e32 v19, 31, v18
	v_add_u32_e32 v6, 0xcca8, v1
	v_lshlrev_b64 v[10:11], 3, v[18:19]
	v_ashrrev_i32_e32 v7, 31, v6
	v_mov_b32_e32 v23, s17
	v_lshlrev_b64 v[6:7], 3, v[6:7]
	global_store_dwordx2 v[16:17], v[12:13], off
	v_add_co_u32_e32 v16, vcc, s16, v10
	v_addc_co_u32_e32 v17, vcc, v23, v11, vcc
	v_add_co_u32_e32 v18, vcc, s16, v6
	v_addc_co_u32_e32 v19, vcc, v28, v7, vcc
	global_load_dwordx2 v[22:23], v[20:21], off
	global_load_dwordx2 v[28:29], v[16:17], off
	;; [unrolled: 1-line block ×3, first 2 shown]
	s_waitcnt vmcnt(5)
	v_mul_f64 v[16:17], v[14:15], s[8:9]
	v_cmp_nlt_f64_e32 vcc, s[22:23], v[14:15]
	v_cmp_ngt_f64_e64 s[0:1], s[24:25], v[14:15]
	v_rndne_f64_e32 v[16:17], v[16:17]
	v_fma_f64 v[18:19], v[16:17], s[12:13], v[14:15]
	v_fma_f64 v[18:19], v[16:17], s[10:11], v[18:19]
	v_cvt_i32_f64_e32 v16, v[16:17]
	v_fma_f64 v[20:21], v[18:19], s[18:19], v[4:5]
	v_fma_f64 v[20:21], v[18:19], v[20:21], s[20:21]
	;; [unrolled: 1-line block ×4, first 2 shown]
	s_waitcnt vmcnt(1)
	v_cmp_nlt_f64_e64 s[2:3], s[22:23], v[28:29]
	v_cmp_ngt_f64_e64 s[4:5], s[24:25], v[28:29]
	v_fma_f64 v[20:21], v[18:19], v[20:21], s[30:31]
	v_fma_f64 v[20:21], v[18:19], v[20:21], s[34:35]
	;; [unrolled: 1-line block ×5, first 2 shown]
	v_fma_f64 v[20:21], v[18:19], v[20:21], 1.0
	v_fma_f64 v[18:19], v[18:19], v[20:21], 1.0
	v_ldexp_f64 v[16:17], v[18:19], v16
	v_cndmask_b32_e32 v17, v25, v17, vcc
	s_and_b64 vcc, s[0:1], vcc
	v_cndmask_b32_e64 v15, 0, v17, s[0:1]
	v_cndmask_b32_e32 v14, 0, v16, vcc
	v_mul_f64 v[14:15], v[14:15], v[2:3]
	v_mul_f64 v[16:17], v[22:23], s[8:9]
	v_cmp_eq_u32_e32 vcc, 3, v0
	v_cmp_ngt_f64_e64 s[0:1], s[24:25], v[22:23]
	v_cvt_f32_f64_e32 v18, v[14:15]
	v_rndne_f64_e32 v[14:15], v[16:17]
	v_sub_f32_e32 v19, v24, v18
	v_cndmask_b32_e64 v16, -v18, v19, vcc
	v_cvt_f64_f32_e32 v[16:17], v16
	v_cmp_nlt_f64_e32 vcc, s[22:23], v[22:23]
	global_store_dwordx2 v[26:27], v[16:17], off
	v_fma_f64 v[16:17], v[14:15], s[12:13], v[22:23]
	v_fma_f64 v[16:17], v[14:15], s[10:11], v[16:17]
	v_cvt_i32_f64_e32 v14, v[14:15]
	v_fma_f64 v[18:19], v[16:17], s[18:19], v[4:5]
	v_fma_f64 v[18:19], v[16:17], v[18:19], s[20:21]
	v_fma_f64 v[18:19], v[16:17], v[18:19], s[26:27]
	v_fma_f64 v[18:19], v[16:17], v[18:19], s[28:29]
	v_fma_f64 v[18:19], v[16:17], v[18:19], s[30:31]
	v_fma_f64 v[18:19], v[16:17], v[18:19], s[34:35]
	v_fma_f64 v[18:19], v[16:17], v[18:19], s[36:37]
	v_fma_f64 v[18:19], v[16:17], v[18:19], s[38:39]
	v_fma_f64 v[18:19], v[16:17], v[18:19], s[40:41]
	v_fma_f64 v[18:19], v[16:17], v[18:19], 1.0
	v_fma_f64 v[16:17], v[16:17], v[18:19], 1.0
	v_mul_f64 v[18:19], v[28:29], s[8:9]
	v_ldexp_f64 v[14:15], v[16:17], v14
	v_rndne_f64_e32 v[16:17], v[18:19]
	v_cndmask_b32_e32 v26, v25, v15, vcc
	v_fma_f64 v[18:19], v[16:17], s[12:13], v[28:29]
	s_and_b64 vcc, s[0:1], vcc
	v_cndmask_b32_e32 v22, 0, v14, vcc
	s_and_b64 vcc, s[4:5], s[2:3]
	v_cndmask_b32_e64 v23, 0, v26, s[0:1]
	v_mul_f64 v[22:23], v[22:23], v[2:3]
	s_waitcnt vmcnt(1)
	v_cmp_ngt_f64_e64 s[0:1], s[24:25], v[12:13]
	v_fma_f64 v[18:19], v[16:17], s[10:11], v[18:19]
	v_cvt_i32_f64_e32 v17, v[16:17]
	v_mul_f64 v[15:16], v[12:13], s[8:9]
	v_cvt_f32_f64_e32 v22, v[22:23]
	v_mov_b32_e32 v23, s15
	v_fma_f64 v[20:21], v[18:19], s[18:19], v[4:5]
	v_rndne_f64_e32 v[15:16], v[15:16]
	v_fma_f64 v[20:21], v[18:19], v[20:21], s[20:21]
	v_cvt_i32_f64_e32 v14, v[15:16]
	v_fma_f64 v[20:21], v[18:19], v[20:21], s[26:27]
	v_fma_f64 v[20:21], v[18:19], v[20:21], s[28:29]
	;; [unrolled: 1-line block ×7, first 2 shown]
	v_fma_f64 v[20:21], v[18:19], v[20:21], 1.0
	v_fma_f64 v[18:19], v[18:19], v[20:21], 1.0
	v_ldexp_f64 v[17:18], v[18:19], v17
	v_cndmask_b32_e64 v27, v25, v18, s[2:3]
	v_fma_f64 v[18:19], v[15:16], s[12:13], v[12:13]
	v_cmp_eq_u32_e64 s[2:3], 4, v0
	v_fma_f64 v[18:19], v[15:16], s[10:11], v[18:19]
	v_fma_f64 v[20:21], v[18:19], s[18:19], v[4:5]
	;; [unrolled: 1-line block ×10, first 2 shown]
	v_fma_f64 v[20:21], v[18:19], v[20:21], 1.0
	v_fma_f64 v[18:19], v[18:19], v[20:21], 1.0
	v_cndmask_b32_e32 v20, 0, v17, vcc
	v_cndmask_b32_e64 v21, 0, v27, s[4:5]
	v_mul_f64 v[20:21], v[20:21], v[2:3]
	v_ldexp_f64 v[18:19], v[18:19], v14
	v_add_u32_e32 v14, 0xeec4, v1
	v_ashrrev_i32_e32 v15, 31, v14
	v_lshlrev_b64 v[16:17], 3, v[14:15]
	v_mov_b32_e32 v15, s17
	v_add_co_u32_e32 v14, vcc, s16, v16
	v_addc_co_u32_e32 v15, vcc, v15, v17, vcc
	global_load_dwordx2 v[14:15], v[14:15], off
	v_cmp_nlt_f64_e32 vcc, s[22:23], v[12:13]
	v_sub_f32_e32 v12, v24, v22
	v_cndmask_b32_e64 v12, -v22, v12, s[2:3]
	v_cvt_f64_f32_e32 v[12:13], v12
	v_cvt_f32_f64_e32 v20, v[20:21]
	v_cndmask_b32_e32 v19, v25, v19, vcc
	s_and_b64 vcc, s[0:1], vcc
	v_cndmask_b32_e64 v19, 0, v19, s[0:1]
	v_cndmask_b32_e32 v18, 0, v18, vcc
	v_mul_f64 v[18:19], v[18:19], v[2:3]
	v_add_co_u32_e32 v8, vcc, s14, v8
	v_addc_co_u32_e32 v9, vcc, v23, v9, vcc
	global_store_dwordx2 v[8:9], v[12:13], off
	v_sub_f32_e32 v8, v24, v20
	v_cmp_eq_u32_e32 vcc, 5, v0
	v_cndmask_b32_e64 v8, -v20, v8, vcc
	v_cvt_f32_f64_e32 v13, v[18:19]
	v_cvt_f64_f32_e32 v[8:9], v8
	v_mov_b32_e32 v12, s15
	v_add_co_u32_e32 v10, vcc, s14, v10
	v_addc_co_u32_e32 v11, vcc, v12, v11, vcc
	global_store_dwordx2 v[10:11], v[8:9], off
	v_sub_f32_e32 v8, v24, v13
	v_cmp_eq_u32_e32 vcc, 6, v0
	v_cndmask_b32_e64 v8, -v13, v8, vcc
	v_cvt_f64_f32_e32 v[8:9], v8
	v_mov_b32_e32 v10, s15
	v_add_co_u32_e32 v6, vcc, s14, v6
	v_addc_co_u32_e32 v7, vcc, v10, v7, vcc
	global_store_dwordx2 v[6:7], v[8:9], off
	v_mov_b32_e32 v6, s15
	v_add_co_u32_e32 v16, vcc, s14, v16
	v_addc_co_u32_e32 v17, vcc, v6, v17, vcc
	v_add_u32_e32 v6, 0x110e0, v1
	v_ashrrev_i32_e32 v7, 31, v6
	v_lshlrev_b64 v[6:7], 3, v[6:7]
	v_mov_b32_e32 v8, s17
	v_add_co_u32_e32 v18, vcc, s16, v6
	v_addc_co_u32_e32 v19, vcc, v8, v7, vcc
	v_add_u32_e32 v8, 0x132fc, v1
	v_ashrrev_i32_e32 v9, 31, v8
	v_lshlrev_b64 v[8:9], 3, v[8:9]
	;; [unrolled: 6-line block ×3, first 2 shown]
	v_mov_b32_e32 v12, s17
	v_add_co_u32_e32 v22, vcc, s16, v10
	v_addc_co_u32_e32 v23, vcc, v12, v11, vcc
	global_load_dwordx2 v[26:27], v[18:19], off
	global_load_dwordx2 v[28:29], v[20:21], off
	;; [unrolled: 1-line block ×3, first 2 shown]
	s_waitcnt vmcnt(6)
	v_mul_f64 v[18:19], v[14:15], s[8:9]
	v_cmp_nlt_f64_e32 vcc, s[22:23], v[14:15]
	v_cmp_ngt_f64_e64 s[0:1], s[24:25], v[14:15]
	v_rndne_f64_e32 v[18:19], v[18:19]
	v_fma_f64 v[20:21], v[18:19], s[12:13], v[14:15]
	v_fma_f64 v[20:21], v[18:19], s[10:11], v[20:21]
	v_cvt_i32_f64_e32 v18, v[18:19]
	v_fma_f64 v[22:23], v[20:21], s[18:19], v[4:5]
	v_fma_f64 v[22:23], v[20:21], v[22:23], s[20:21]
	;; [unrolled: 1-line block ×5, first 2 shown]
	s_waitcnt vmcnt(1)
	v_cmp_nlt_f64_e64 s[2:3], s[22:23], v[28:29]
	v_cmp_ngt_f64_e64 s[4:5], s[24:25], v[28:29]
	v_fma_f64 v[22:23], v[20:21], v[22:23], s[34:35]
	v_fma_f64 v[22:23], v[20:21], v[22:23], s[36:37]
	;; [unrolled: 1-line block ×4, first 2 shown]
	v_fma_f64 v[22:23], v[20:21], v[22:23], 1.0
	v_fma_f64 v[20:21], v[20:21], v[22:23], 1.0
	v_ldexp_f64 v[18:19], v[20:21], v18
	v_cndmask_b32_e32 v19, v25, v19, vcc
	s_and_b64 vcc, s[0:1], vcc
	v_cndmask_b32_e64 v15, 0, v19, s[0:1]
	v_cndmask_b32_e32 v14, 0, v18, vcc
	v_mul_f64 v[14:15], v[14:15], v[2:3]
	v_mul_f64 v[18:19], v[26:27], s[8:9]
	v_cmp_eq_u32_e32 vcc, 7, v0
	v_cmp_ngt_f64_e64 s[0:1], s[24:25], v[26:27]
	v_cvt_f32_f64_e32 v20, v[14:15]
	v_rndne_f64_e32 v[14:15], v[18:19]
	v_sub_f32_e32 v21, v24, v20
	v_cndmask_b32_e64 v18, -v20, v21, vcc
	v_cvt_f64_f32_e32 v[18:19], v18
	v_cmp_nlt_f64_e32 vcc, s[22:23], v[26:27]
	global_store_dwordx2 v[16:17], v[18:19], off
	v_fma_f64 v[16:17], v[14:15], s[12:13], v[26:27]
	v_fma_f64 v[16:17], v[14:15], s[10:11], v[16:17]
	v_cvt_i32_f64_e32 v14, v[14:15]
	v_fma_f64 v[18:19], v[16:17], s[18:19], v[4:5]
	v_fma_f64 v[18:19], v[16:17], v[18:19], s[20:21]
	;; [unrolled: 1-line block ×9, first 2 shown]
	v_fma_f64 v[18:19], v[16:17], v[18:19], 1.0
	v_fma_f64 v[16:17], v[16:17], v[18:19], 1.0
	v_mul_f64 v[18:19], v[28:29], s[8:9]
	v_ldexp_f64 v[14:15], v[16:17], v14
	v_rndne_f64_e32 v[16:17], v[18:19]
	v_cndmask_b32_e32 v22, v25, v15, vcc
	v_fma_f64 v[18:19], v[16:17], s[12:13], v[28:29]
	s_and_b64 vcc, s[0:1], vcc
	v_cndmask_b32_e64 v23, 0, v22, s[0:1]
	v_cndmask_b32_e32 v22, 0, v14, vcc
	s_and_b64 vcc, s[4:5], s[2:3]
	v_mul_f64 v[22:23], v[22:23], v[2:3]
	s_waitcnt vmcnt(1)
	v_cmp_ngt_f64_e64 s[0:1], s[24:25], v[12:13]
	v_fma_f64 v[18:19], v[16:17], s[10:11], v[18:19]
	v_cvt_i32_f64_e32 v17, v[16:17]
	v_mul_f64 v[15:16], v[12:13], s[8:9]
	v_cvt_f32_f64_e32 v22, v[22:23]
	v_mov_b32_e32 v23, s15
	v_fma_f64 v[20:21], v[18:19], s[18:19], v[4:5]
	v_rndne_f64_e32 v[15:16], v[15:16]
	v_fma_f64 v[20:21], v[18:19], v[20:21], s[20:21]
	v_cvt_i32_f64_e32 v14, v[15:16]
	v_fma_f64 v[20:21], v[18:19], v[20:21], s[26:27]
	v_fma_f64 v[20:21], v[18:19], v[20:21], s[28:29]
	;; [unrolled: 1-line block ×7, first 2 shown]
	v_fma_f64 v[20:21], v[18:19], v[20:21], 1.0
	v_fma_f64 v[18:19], v[18:19], v[20:21], 1.0
	v_ldexp_f64 v[17:18], v[18:19], v17
	v_cndmask_b32_e64 v26, v25, v18, s[2:3]
	v_fma_f64 v[18:19], v[15:16], s[12:13], v[12:13]
	v_cmp_eq_u32_e64 s[2:3], 8, v0
	v_fma_f64 v[18:19], v[15:16], s[10:11], v[18:19]
	v_fma_f64 v[20:21], v[18:19], s[18:19], v[4:5]
	v_fma_f64 v[20:21], v[18:19], v[20:21], s[20:21]
	v_fma_f64 v[20:21], v[18:19], v[20:21], s[26:27]
	v_fma_f64 v[20:21], v[18:19], v[20:21], s[28:29]
	v_fma_f64 v[20:21], v[18:19], v[20:21], s[30:31]
	v_fma_f64 v[20:21], v[18:19], v[20:21], s[34:35]
	v_fma_f64 v[20:21], v[18:19], v[20:21], s[36:37]
	v_fma_f64 v[20:21], v[18:19], v[20:21], s[38:39]
	v_fma_f64 v[20:21], v[18:19], v[20:21], s[40:41]
	v_fma_f64 v[20:21], v[18:19], v[20:21], 1.0
	v_fma_f64 v[18:19], v[18:19], v[20:21], 1.0
	v_cndmask_b32_e32 v20, 0, v17, vcc
	v_cndmask_b32_e64 v21, 0, v26, s[4:5]
	v_mul_f64 v[20:21], v[20:21], v[2:3]
	v_ldexp_f64 v[18:19], v[18:19], v14
	v_add_u32_e32 v14, 0x17734, v1
	v_ashrrev_i32_e32 v15, 31, v14
	v_lshlrev_b64 v[16:17], 3, v[14:15]
	v_mov_b32_e32 v15, s17
	v_add_co_u32_e32 v14, vcc, s16, v16
	v_addc_co_u32_e32 v15, vcc, v15, v17, vcc
	global_load_dwordx2 v[14:15], v[14:15], off
	v_cmp_nlt_f64_e32 vcc, s[22:23], v[12:13]
	v_sub_f32_e32 v12, v24, v22
	v_cndmask_b32_e64 v12, -v22, v12, s[2:3]
	v_cvt_f64_f32_e32 v[12:13], v12
	v_cvt_f32_f64_e32 v20, v[20:21]
	v_cndmask_b32_e32 v19, v25, v19, vcc
	s_and_b64 vcc, s[0:1], vcc
	v_cndmask_b32_e64 v19, 0, v19, s[0:1]
	v_cndmask_b32_e32 v18, 0, v18, vcc
	v_mul_f64 v[18:19], v[18:19], v[2:3]
	v_add_co_u32_e32 v6, vcc, s14, v6
	v_addc_co_u32_e32 v7, vcc, v23, v7, vcc
	global_store_dwordx2 v[6:7], v[12:13], off
	v_sub_f32_e32 v6, v24, v20
	v_cmp_eq_u32_e32 vcc, 9, v0
	v_cndmask_b32_e64 v6, -v20, v6, vcc
	v_cvt_f32_f64_e32 v13, v[18:19]
	v_cvt_f64_f32_e32 v[6:7], v6
	v_mov_b32_e32 v12, s15
	v_add_co_u32_e32 v8, vcc, s14, v8
	v_addc_co_u32_e32 v9, vcc, v12, v9, vcc
	global_store_dwordx2 v[8:9], v[6:7], off
	v_sub_f32_e32 v6, v24, v13
	v_cmp_eq_u32_e32 vcc, 10, v0
	v_cndmask_b32_e64 v6, -v13, v6, vcc
	v_cvt_f64_f32_e32 v[6:7], v6
	v_mov_b32_e32 v9, s15
	v_add_co_u32_e32 v8, vcc, s14, v10
	v_addc_co_u32_e32 v9, vcc, v9, v11, vcc
	global_store_dwordx2 v[8:9], v[6:7], off
	v_mov_b32_e32 v6, s15
	v_add_co_u32_e32 v16, vcc, s14, v16
	v_addc_co_u32_e32 v17, vcc, v6, v17, vcc
	v_add_u32_e32 v6, 0x19950, v1
	v_ashrrev_i32_e32 v7, 31, v6
	v_lshlrev_b64 v[6:7], 3, v[6:7]
	v_mov_b32_e32 v8, s17
	v_add_co_u32_e32 v18, vcc, s16, v6
	v_addc_co_u32_e32 v19, vcc, v8, v7, vcc
	v_add_u32_e32 v8, 0x1bb6c, v1
	v_ashrrev_i32_e32 v9, 31, v8
	v_lshlrev_b64 v[8:9], 3, v[8:9]
	;; [unrolled: 6-line block ×3, first 2 shown]
	v_mov_b32_e32 v12, s17
	v_add_co_u32_e32 v22, vcc, s16, v10
	v_addc_co_u32_e32 v23, vcc, v12, v11, vcc
	global_load_dwordx2 v[26:27], v[18:19], off
	global_load_dwordx2 v[28:29], v[20:21], off
	;; [unrolled: 1-line block ×3, first 2 shown]
	s_waitcnt vmcnt(6)
	v_mul_f64 v[18:19], v[14:15], s[8:9]
	v_cmp_nlt_f64_e32 vcc, s[22:23], v[14:15]
	v_cmp_ngt_f64_e64 s[0:1], s[24:25], v[14:15]
	v_rndne_f64_e32 v[18:19], v[18:19]
	v_fma_f64 v[20:21], v[18:19], s[12:13], v[14:15]
	v_fma_f64 v[20:21], v[18:19], s[10:11], v[20:21]
	v_cvt_i32_f64_e32 v18, v[18:19]
	v_fma_f64 v[22:23], v[20:21], s[18:19], v[4:5]
	v_fma_f64 v[22:23], v[20:21], v[22:23], s[20:21]
	;; [unrolled: 1-line block ×5, first 2 shown]
	s_waitcnt vmcnt(1)
	v_cmp_nlt_f64_e64 s[2:3], s[22:23], v[28:29]
	v_cmp_ngt_f64_e64 s[4:5], s[24:25], v[28:29]
	v_fma_f64 v[22:23], v[20:21], v[22:23], s[34:35]
	v_fma_f64 v[22:23], v[20:21], v[22:23], s[36:37]
	;; [unrolled: 1-line block ×4, first 2 shown]
	v_fma_f64 v[22:23], v[20:21], v[22:23], 1.0
	v_fma_f64 v[20:21], v[20:21], v[22:23], 1.0
	v_ldexp_f64 v[18:19], v[20:21], v18
	v_cndmask_b32_e32 v19, v25, v19, vcc
	s_and_b64 vcc, s[0:1], vcc
	v_cndmask_b32_e64 v15, 0, v19, s[0:1]
	v_cndmask_b32_e32 v14, 0, v18, vcc
	v_mul_f64 v[14:15], v[14:15], v[2:3]
	v_mul_f64 v[18:19], v[26:27], s[8:9]
	v_cmp_eq_u32_e32 vcc, 11, v0
	v_cmp_ngt_f64_e64 s[0:1], s[24:25], v[26:27]
	v_cvt_f32_f64_e32 v20, v[14:15]
	v_rndne_f64_e32 v[14:15], v[18:19]
	v_sub_f32_e32 v21, v24, v20
	v_cndmask_b32_e64 v18, -v20, v21, vcc
	v_cvt_f64_f32_e32 v[18:19], v18
	v_cmp_nlt_f64_e32 vcc, s[22:23], v[26:27]
	global_store_dwordx2 v[16:17], v[18:19], off
	v_fma_f64 v[16:17], v[14:15], s[12:13], v[26:27]
	v_fma_f64 v[16:17], v[14:15], s[10:11], v[16:17]
	v_cvt_i32_f64_e32 v14, v[14:15]
	v_fma_f64 v[18:19], v[16:17], s[18:19], v[4:5]
	v_fma_f64 v[18:19], v[16:17], v[18:19], s[20:21]
	;; [unrolled: 1-line block ×9, first 2 shown]
	v_fma_f64 v[18:19], v[16:17], v[18:19], 1.0
	v_fma_f64 v[16:17], v[16:17], v[18:19], 1.0
	v_mul_f64 v[18:19], v[28:29], s[8:9]
	v_ldexp_f64 v[14:15], v[16:17], v14
	v_rndne_f64_e32 v[16:17], v[18:19]
	v_cndmask_b32_e32 v22, v25, v15, vcc
	v_fma_f64 v[18:19], v[16:17], s[12:13], v[28:29]
	s_and_b64 vcc, s[0:1], vcc
	v_cndmask_b32_e64 v23, 0, v22, s[0:1]
	v_cndmask_b32_e32 v22, 0, v14, vcc
	s_and_b64 vcc, s[4:5], s[2:3]
	v_mul_f64 v[22:23], v[22:23], v[2:3]
	s_waitcnt vmcnt(1)
	v_cmp_ngt_f64_e64 s[0:1], s[24:25], v[12:13]
	v_fma_f64 v[18:19], v[16:17], s[10:11], v[18:19]
	v_cvt_i32_f64_e32 v17, v[16:17]
	v_mul_f64 v[15:16], v[12:13], s[8:9]
	v_cvt_f32_f64_e32 v22, v[22:23]
	v_mov_b32_e32 v23, s15
	v_fma_f64 v[20:21], v[18:19], s[18:19], v[4:5]
	v_rndne_f64_e32 v[15:16], v[15:16]
	v_fma_f64 v[20:21], v[18:19], v[20:21], s[20:21]
	v_cvt_i32_f64_e32 v14, v[15:16]
	v_fma_f64 v[20:21], v[18:19], v[20:21], s[26:27]
	v_fma_f64 v[20:21], v[18:19], v[20:21], s[28:29]
	;; [unrolled: 1-line block ×7, first 2 shown]
	v_fma_f64 v[20:21], v[18:19], v[20:21], 1.0
	v_fma_f64 v[18:19], v[18:19], v[20:21], 1.0
	v_ldexp_f64 v[17:18], v[18:19], v17
	v_cndmask_b32_e64 v26, v25, v18, s[2:3]
	v_fma_f64 v[18:19], v[15:16], s[12:13], v[12:13]
	v_cmp_eq_u32_e64 s[2:3], 12, v0
	v_fma_f64 v[18:19], v[15:16], s[10:11], v[18:19]
	v_fma_f64 v[20:21], v[18:19], s[18:19], v[4:5]
	v_fma_f64 v[20:21], v[18:19], v[20:21], s[20:21]
	v_fma_f64 v[20:21], v[18:19], v[20:21], s[26:27]
	v_fma_f64 v[20:21], v[18:19], v[20:21], s[28:29]
	v_fma_f64 v[20:21], v[18:19], v[20:21], s[30:31]
	v_fma_f64 v[20:21], v[18:19], v[20:21], s[34:35]
	v_fma_f64 v[20:21], v[18:19], v[20:21], s[36:37]
	v_fma_f64 v[20:21], v[18:19], v[20:21], s[38:39]
	v_fma_f64 v[20:21], v[18:19], v[20:21], s[40:41]
	v_fma_f64 v[20:21], v[18:19], v[20:21], 1.0
	v_fma_f64 v[18:19], v[18:19], v[20:21], 1.0
	v_cndmask_b32_e32 v20, 0, v17, vcc
	v_cndmask_b32_e64 v21, 0, v26, s[4:5]
	v_mul_f64 v[20:21], v[20:21], v[2:3]
	v_ldexp_f64 v[18:19], v[18:19], v14
	v_add_u32_e32 v14, 0x1ffa4, v1
	v_ashrrev_i32_e32 v15, 31, v14
	v_lshlrev_b64 v[16:17], 3, v[14:15]
	v_mov_b32_e32 v15, s17
	v_add_co_u32_e32 v14, vcc, s16, v16
	v_addc_co_u32_e32 v15, vcc, v15, v17, vcc
	global_load_dwordx2 v[14:15], v[14:15], off
	v_cmp_nlt_f64_e32 vcc, s[22:23], v[12:13]
	v_sub_f32_e32 v12, v24, v22
	v_cndmask_b32_e64 v12, -v22, v12, s[2:3]
	v_cvt_f64_f32_e32 v[12:13], v12
	v_cvt_f32_f64_e32 v20, v[20:21]
	v_cndmask_b32_e32 v19, v25, v19, vcc
	s_and_b64 vcc, s[0:1], vcc
	v_cndmask_b32_e64 v19, 0, v19, s[0:1]
	v_cndmask_b32_e32 v18, 0, v18, vcc
	v_mul_f64 v[18:19], v[18:19], v[2:3]
	v_add_co_u32_e32 v6, vcc, s14, v6
	v_addc_co_u32_e32 v7, vcc, v23, v7, vcc
	global_store_dwordx2 v[6:7], v[12:13], off
	v_sub_f32_e32 v6, v24, v20
	v_cmp_eq_u32_e32 vcc, 13, v0
	v_cndmask_b32_e64 v6, -v20, v6, vcc
	v_cvt_f32_f64_e32 v13, v[18:19]
	v_cvt_f64_f32_e32 v[6:7], v6
	v_mov_b32_e32 v12, s15
	v_add_co_u32_e32 v8, vcc, s14, v8
	v_addc_co_u32_e32 v9, vcc, v12, v9, vcc
	global_store_dwordx2 v[8:9], v[6:7], off
	v_sub_f32_e32 v6, v24, v13
	v_cmp_eq_u32_e32 vcc, 14, v0
	v_cndmask_b32_e64 v6, -v13, v6, vcc
	v_cvt_f64_f32_e32 v[6:7], v6
	v_mov_b32_e32 v9, s15
	v_add_co_u32_e32 v8, vcc, s14, v10
	v_addc_co_u32_e32 v9, vcc, v9, v11, vcc
	global_store_dwordx2 v[8:9], v[6:7], off
	v_mov_b32_e32 v6, s15
	v_add_co_u32_e32 v16, vcc, s14, v16
	v_addc_co_u32_e32 v17, vcc, v6, v17, vcc
	v_add_u32_e32 v6, 0x221c0, v1
	v_ashrrev_i32_e32 v7, 31, v6
	v_lshlrev_b64 v[6:7], 3, v[6:7]
	v_mov_b32_e32 v8, s17
	v_add_co_u32_e32 v18, vcc, s16, v6
	v_addc_co_u32_e32 v19, vcc, v8, v7, vcc
	v_add_u32_e32 v8, 0x243dc, v1
	v_ashrrev_i32_e32 v9, 31, v8
	v_lshlrev_b64 v[8:9], 3, v[8:9]
	;; [unrolled: 6-line block ×3, first 2 shown]
	v_mov_b32_e32 v12, s17
	v_add_co_u32_e32 v22, vcc, s16, v10
	v_addc_co_u32_e32 v23, vcc, v12, v11, vcc
	global_load_dwordx2 v[26:27], v[18:19], off
	global_load_dwordx2 v[28:29], v[20:21], off
	;; [unrolled: 1-line block ×3, first 2 shown]
	s_waitcnt vmcnt(6)
	v_mul_f64 v[18:19], v[14:15], s[8:9]
	v_cmp_nlt_f64_e32 vcc, s[22:23], v[14:15]
	v_cmp_ngt_f64_e64 s[0:1], s[24:25], v[14:15]
	v_rndne_f64_e32 v[18:19], v[18:19]
	v_fma_f64 v[20:21], v[18:19], s[12:13], v[14:15]
	v_fma_f64 v[20:21], v[18:19], s[10:11], v[20:21]
	v_cvt_i32_f64_e32 v18, v[18:19]
	v_fma_f64 v[22:23], v[20:21], s[18:19], v[4:5]
	v_fma_f64 v[22:23], v[20:21], v[22:23], s[20:21]
	;; [unrolled: 1-line block ×5, first 2 shown]
	s_waitcnt vmcnt(1)
	v_cmp_nlt_f64_e64 s[2:3], s[22:23], v[28:29]
	v_cmp_ngt_f64_e64 s[4:5], s[24:25], v[28:29]
	v_fma_f64 v[22:23], v[20:21], v[22:23], s[34:35]
	v_fma_f64 v[22:23], v[20:21], v[22:23], s[36:37]
	v_fma_f64 v[22:23], v[20:21], v[22:23], s[38:39]
	v_fma_f64 v[22:23], v[20:21], v[22:23], s[40:41]
	v_fma_f64 v[22:23], v[20:21], v[22:23], 1.0
	v_fma_f64 v[20:21], v[20:21], v[22:23], 1.0
	v_ldexp_f64 v[18:19], v[20:21], v18
	v_cndmask_b32_e32 v19, v25, v19, vcc
	s_and_b64 vcc, s[0:1], vcc
	v_cndmask_b32_e64 v15, 0, v19, s[0:1]
	v_cndmask_b32_e32 v14, 0, v18, vcc
	v_mul_f64 v[14:15], v[14:15], v[2:3]
	v_mul_f64 v[18:19], v[26:27], s[8:9]
	v_cmp_eq_u32_e32 vcc, 15, v0
	v_cmp_ngt_f64_e64 s[0:1], s[24:25], v[26:27]
	v_cvt_f32_f64_e32 v20, v[14:15]
	v_rndne_f64_e32 v[14:15], v[18:19]
	v_sub_f32_e32 v21, v24, v20
	v_cndmask_b32_e64 v18, -v20, v21, vcc
	v_cvt_f64_f32_e32 v[18:19], v18
	v_cmp_nlt_f64_e32 vcc, s[22:23], v[26:27]
	global_store_dwordx2 v[16:17], v[18:19], off
	v_fma_f64 v[16:17], v[14:15], s[12:13], v[26:27]
	v_fma_f64 v[16:17], v[14:15], s[10:11], v[16:17]
	v_cvt_i32_f64_e32 v14, v[14:15]
	v_fma_f64 v[18:19], v[16:17], s[18:19], v[4:5]
	v_fma_f64 v[18:19], v[16:17], v[18:19], s[20:21]
	v_fma_f64 v[18:19], v[16:17], v[18:19], s[26:27]
	v_fma_f64 v[18:19], v[16:17], v[18:19], s[28:29]
	v_fma_f64 v[18:19], v[16:17], v[18:19], s[30:31]
	v_fma_f64 v[18:19], v[16:17], v[18:19], s[34:35]
	v_fma_f64 v[18:19], v[16:17], v[18:19], s[36:37]
	v_fma_f64 v[18:19], v[16:17], v[18:19], s[38:39]
	v_fma_f64 v[18:19], v[16:17], v[18:19], s[40:41]
	v_fma_f64 v[18:19], v[16:17], v[18:19], 1.0
	v_fma_f64 v[16:17], v[16:17], v[18:19], 1.0
	v_mul_f64 v[18:19], v[28:29], s[8:9]
	v_ldexp_f64 v[14:15], v[16:17], v14
	v_rndne_f64_e32 v[16:17], v[18:19]
	v_cndmask_b32_e32 v22, v25, v15, vcc
	v_fma_f64 v[18:19], v[16:17], s[12:13], v[28:29]
	s_and_b64 vcc, s[0:1], vcc
	v_cndmask_b32_e64 v23, 0, v22, s[0:1]
	v_cndmask_b32_e32 v22, 0, v14, vcc
	s_and_b64 vcc, s[4:5], s[2:3]
	v_mul_f64 v[22:23], v[22:23], v[2:3]
	s_waitcnt vmcnt(1)
	v_cmp_ngt_f64_e64 s[0:1], s[24:25], v[12:13]
	v_fma_f64 v[18:19], v[16:17], s[10:11], v[18:19]
	v_cvt_i32_f64_e32 v17, v[16:17]
	v_mul_f64 v[15:16], v[12:13], s[8:9]
	v_cvt_f32_f64_e32 v22, v[22:23]
	v_mov_b32_e32 v23, s15
	v_fma_f64 v[20:21], v[18:19], s[18:19], v[4:5]
	v_rndne_f64_e32 v[15:16], v[15:16]
	v_fma_f64 v[20:21], v[18:19], v[20:21], s[20:21]
	v_cvt_i32_f64_e32 v14, v[15:16]
	v_fma_f64 v[20:21], v[18:19], v[20:21], s[26:27]
	v_fma_f64 v[20:21], v[18:19], v[20:21], s[28:29]
	;; [unrolled: 1-line block ×7, first 2 shown]
	v_fma_f64 v[20:21], v[18:19], v[20:21], 1.0
	v_fma_f64 v[18:19], v[18:19], v[20:21], 1.0
	v_ldexp_f64 v[17:18], v[18:19], v17
	v_cndmask_b32_e64 v26, v25, v18, s[2:3]
	v_fma_f64 v[18:19], v[15:16], s[12:13], v[12:13]
	v_cmp_eq_u32_e64 s[2:3], 16, v0
	v_fma_f64 v[18:19], v[15:16], s[10:11], v[18:19]
	v_fma_f64 v[20:21], v[18:19], s[18:19], v[4:5]
	;; [unrolled: 1-line block ×10, first 2 shown]
	v_fma_f64 v[20:21], v[18:19], v[20:21], 1.0
	v_fma_f64 v[18:19], v[18:19], v[20:21], 1.0
	v_cndmask_b32_e32 v20, 0, v17, vcc
	v_cndmask_b32_e64 v21, 0, v26, s[4:5]
	v_mul_f64 v[20:21], v[20:21], v[2:3]
	v_ldexp_f64 v[18:19], v[18:19], v14
	v_add_u32_e32 v14, 0x28814, v1
	v_ashrrev_i32_e32 v15, 31, v14
	v_lshlrev_b64 v[16:17], 3, v[14:15]
	v_mov_b32_e32 v15, s17
	v_add_co_u32_e32 v14, vcc, s16, v16
	v_addc_co_u32_e32 v15, vcc, v15, v17, vcc
	global_load_dwordx2 v[14:15], v[14:15], off
	v_cmp_nlt_f64_e32 vcc, s[22:23], v[12:13]
	v_sub_f32_e32 v12, v24, v22
	v_cndmask_b32_e64 v12, -v22, v12, s[2:3]
	v_cvt_f64_f32_e32 v[12:13], v12
	v_cvt_f32_f64_e32 v20, v[20:21]
	v_cndmask_b32_e32 v19, v25, v19, vcc
	s_and_b64 vcc, s[0:1], vcc
	v_cndmask_b32_e64 v19, 0, v19, s[0:1]
	v_cndmask_b32_e32 v18, 0, v18, vcc
	v_mul_f64 v[18:19], v[18:19], v[2:3]
	v_add_co_u32_e32 v6, vcc, s14, v6
	v_addc_co_u32_e32 v7, vcc, v23, v7, vcc
	global_store_dwordx2 v[6:7], v[12:13], off
	v_sub_f32_e32 v6, v24, v20
	v_cmp_eq_u32_e32 vcc, 17, v0
	v_cndmask_b32_e64 v6, -v20, v6, vcc
	v_cvt_f32_f64_e32 v13, v[18:19]
	v_cvt_f64_f32_e32 v[6:7], v6
	v_mov_b32_e32 v12, s15
	v_add_co_u32_e32 v8, vcc, s14, v8
	v_addc_co_u32_e32 v9, vcc, v12, v9, vcc
	global_store_dwordx2 v[8:9], v[6:7], off
	v_sub_f32_e32 v6, v24, v13
	v_cmp_eq_u32_e32 vcc, 18, v0
	v_cndmask_b32_e64 v6, -v13, v6, vcc
	v_cvt_f64_f32_e32 v[6:7], v6
	v_mov_b32_e32 v9, s15
	v_add_co_u32_e32 v8, vcc, s14, v10
	v_addc_co_u32_e32 v9, vcc, v9, v11, vcc
	global_store_dwordx2 v[8:9], v[6:7], off
	v_mov_b32_e32 v6, s15
	v_add_co_u32_e32 v16, vcc, s14, v16
	v_addc_co_u32_e32 v17, vcc, v6, v17, vcc
	v_add_u32_e32 v6, 0x2aa30, v1
	v_ashrrev_i32_e32 v7, 31, v6
	v_lshlrev_b64 v[6:7], 3, v[6:7]
	v_mov_b32_e32 v8, s17
	v_add_co_u32_e32 v18, vcc, s16, v6
	v_addc_co_u32_e32 v19, vcc, v8, v7, vcc
	v_add_u32_e32 v8, 0x2cc4c, v1
	v_ashrrev_i32_e32 v9, 31, v8
	v_lshlrev_b64 v[8:9], 3, v[8:9]
	;; [unrolled: 6-line block ×3, first 2 shown]
	v_mov_b32_e32 v12, s17
	v_add_co_u32_e32 v22, vcc, s16, v10
	v_addc_co_u32_e32 v23, vcc, v12, v11, vcc
	global_load_dwordx2 v[26:27], v[18:19], off
	global_load_dwordx2 v[28:29], v[20:21], off
	;; [unrolled: 1-line block ×3, first 2 shown]
	s_waitcnt vmcnt(6)
	v_mul_f64 v[18:19], v[14:15], s[8:9]
	v_cmp_nlt_f64_e32 vcc, s[22:23], v[14:15]
	v_cmp_ngt_f64_e64 s[0:1], s[24:25], v[14:15]
	v_rndne_f64_e32 v[18:19], v[18:19]
	v_fma_f64 v[20:21], v[18:19], s[12:13], v[14:15]
	v_fma_f64 v[20:21], v[18:19], s[10:11], v[20:21]
	v_cvt_i32_f64_e32 v18, v[18:19]
	v_fma_f64 v[22:23], v[20:21], s[18:19], v[4:5]
	v_fma_f64 v[22:23], v[20:21], v[22:23], s[20:21]
	;; [unrolled: 1-line block ×5, first 2 shown]
	s_waitcnt vmcnt(1)
	v_cmp_nlt_f64_e64 s[2:3], s[22:23], v[28:29]
	v_cmp_ngt_f64_e64 s[4:5], s[24:25], v[28:29]
	v_fma_f64 v[22:23], v[20:21], v[22:23], s[34:35]
	v_fma_f64 v[22:23], v[20:21], v[22:23], s[36:37]
	;; [unrolled: 1-line block ×4, first 2 shown]
	v_fma_f64 v[22:23], v[20:21], v[22:23], 1.0
	v_fma_f64 v[20:21], v[20:21], v[22:23], 1.0
	v_ldexp_f64 v[18:19], v[20:21], v18
	v_cndmask_b32_e32 v19, v25, v19, vcc
	s_and_b64 vcc, s[0:1], vcc
	v_cndmask_b32_e64 v15, 0, v19, s[0:1]
	v_cndmask_b32_e32 v14, 0, v18, vcc
	v_mul_f64 v[14:15], v[14:15], v[2:3]
	v_mul_f64 v[18:19], v[26:27], s[8:9]
	v_cmp_eq_u32_e32 vcc, 19, v0
	v_cmp_ngt_f64_e64 s[0:1], s[24:25], v[26:27]
	v_cvt_f32_f64_e32 v20, v[14:15]
	v_rndne_f64_e32 v[14:15], v[18:19]
	v_sub_f32_e32 v21, v24, v20
	v_cndmask_b32_e64 v18, -v20, v21, vcc
	v_cvt_f64_f32_e32 v[18:19], v18
	v_cmp_nlt_f64_e32 vcc, s[22:23], v[26:27]
	global_store_dwordx2 v[16:17], v[18:19], off
	v_fma_f64 v[16:17], v[14:15], s[12:13], v[26:27]
	v_fma_f64 v[16:17], v[14:15], s[10:11], v[16:17]
	v_cvt_i32_f64_e32 v14, v[14:15]
	v_fma_f64 v[18:19], v[16:17], s[18:19], v[4:5]
	v_fma_f64 v[18:19], v[16:17], v[18:19], s[20:21]
	v_fma_f64 v[18:19], v[16:17], v[18:19], s[26:27]
	v_fma_f64 v[18:19], v[16:17], v[18:19], s[28:29]
	v_fma_f64 v[18:19], v[16:17], v[18:19], s[30:31]
	v_fma_f64 v[18:19], v[16:17], v[18:19], s[34:35]
	v_fma_f64 v[18:19], v[16:17], v[18:19], s[36:37]
	v_fma_f64 v[18:19], v[16:17], v[18:19], s[38:39]
	v_fma_f64 v[18:19], v[16:17], v[18:19], s[40:41]
	v_fma_f64 v[18:19], v[16:17], v[18:19], 1.0
	v_fma_f64 v[16:17], v[16:17], v[18:19], 1.0
	v_mul_f64 v[18:19], v[28:29], s[8:9]
	v_ldexp_f64 v[14:15], v[16:17], v14
	v_rndne_f64_e32 v[16:17], v[18:19]
	v_cndmask_b32_e32 v22, v25, v15, vcc
	v_fma_f64 v[18:19], v[16:17], s[12:13], v[28:29]
	s_and_b64 vcc, s[0:1], vcc
	v_cndmask_b32_e64 v23, 0, v22, s[0:1]
	v_cndmask_b32_e32 v22, 0, v14, vcc
	s_and_b64 vcc, s[4:5], s[2:3]
	v_mul_f64 v[22:23], v[22:23], v[2:3]
	s_waitcnt vmcnt(1)
	v_cmp_ngt_f64_e64 s[0:1], s[24:25], v[12:13]
	v_fma_f64 v[18:19], v[16:17], s[10:11], v[18:19]
	v_cvt_i32_f64_e32 v17, v[16:17]
	v_mul_f64 v[15:16], v[12:13], s[8:9]
	v_cvt_f32_f64_e32 v22, v[22:23]
	v_mov_b32_e32 v23, s15
	v_fma_f64 v[20:21], v[18:19], s[18:19], v[4:5]
	v_rndne_f64_e32 v[15:16], v[15:16]
	v_fma_f64 v[20:21], v[18:19], v[20:21], s[20:21]
	v_cvt_i32_f64_e32 v14, v[15:16]
	v_fma_f64 v[20:21], v[18:19], v[20:21], s[26:27]
	v_fma_f64 v[20:21], v[18:19], v[20:21], s[28:29]
	;; [unrolled: 1-line block ×7, first 2 shown]
	v_fma_f64 v[20:21], v[18:19], v[20:21], 1.0
	v_fma_f64 v[18:19], v[18:19], v[20:21], 1.0
	v_ldexp_f64 v[17:18], v[18:19], v17
	v_cndmask_b32_e64 v26, v25, v18, s[2:3]
	v_fma_f64 v[18:19], v[15:16], s[12:13], v[12:13]
	v_cmp_eq_u32_e64 s[2:3], 20, v0
	v_fma_f64 v[18:19], v[15:16], s[10:11], v[18:19]
	v_fma_f64 v[20:21], v[18:19], s[18:19], v[4:5]
	;; [unrolled: 1-line block ×10, first 2 shown]
	v_fma_f64 v[20:21], v[18:19], v[20:21], 1.0
	v_fma_f64 v[18:19], v[18:19], v[20:21], 1.0
	v_cndmask_b32_e32 v20, 0, v17, vcc
	v_cndmask_b32_e64 v21, 0, v26, s[4:5]
	v_mul_f64 v[20:21], v[20:21], v[2:3]
	v_ldexp_f64 v[18:19], v[18:19], v14
	v_add_u32_e32 v14, 0x31084, v1
	v_ashrrev_i32_e32 v15, 31, v14
	v_lshlrev_b64 v[16:17], 3, v[14:15]
	v_mov_b32_e32 v15, s17
	v_add_co_u32_e32 v14, vcc, s16, v16
	v_addc_co_u32_e32 v15, vcc, v15, v17, vcc
	global_load_dwordx2 v[14:15], v[14:15], off
	v_cmp_nlt_f64_e32 vcc, s[22:23], v[12:13]
	v_sub_f32_e32 v12, v24, v22
	v_cndmask_b32_e64 v12, -v22, v12, s[2:3]
	v_cvt_f64_f32_e32 v[12:13], v12
	v_cvt_f32_f64_e32 v20, v[20:21]
	v_cndmask_b32_e32 v19, v25, v19, vcc
	s_and_b64 vcc, s[0:1], vcc
	v_cndmask_b32_e64 v19, 0, v19, s[0:1]
	v_cndmask_b32_e32 v18, 0, v18, vcc
	v_mul_f64 v[18:19], v[18:19], v[2:3]
	v_add_co_u32_e32 v6, vcc, s14, v6
	v_addc_co_u32_e32 v7, vcc, v23, v7, vcc
	global_store_dwordx2 v[6:7], v[12:13], off
	v_sub_f32_e32 v6, v24, v20
	v_cmp_eq_u32_e32 vcc, 21, v0
	v_cndmask_b32_e64 v6, -v20, v6, vcc
	v_cvt_f32_f64_e32 v13, v[18:19]
	v_cvt_f64_f32_e32 v[6:7], v6
	v_mov_b32_e32 v12, s15
	v_add_co_u32_e32 v8, vcc, s14, v8
	v_addc_co_u32_e32 v9, vcc, v12, v9, vcc
	global_store_dwordx2 v[8:9], v[6:7], off
	v_sub_f32_e32 v6, v24, v13
	v_cmp_eq_u32_e32 vcc, 22, v0
	v_cndmask_b32_e64 v6, -v13, v6, vcc
	v_cvt_f64_f32_e32 v[6:7], v6
	v_mov_b32_e32 v9, s15
	v_add_co_u32_e32 v8, vcc, s14, v10
	v_addc_co_u32_e32 v9, vcc, v9, v11, vcc
	global_store_dwordx2 v[8:9], v[6:7], off
	v_mov_b32_e32 v6, s15
	v_add_co_u32_e32 v16, vcc, s14, v16
	v_addc_co_u32_e32 v17, vcc, v6, v17, vcc
	v_add_u32_e32 v6, 0x332a0, v1
	v_ashrrev_i32_e32 v7, 31, v6
	v_lshlrev_b64 v[6:7], 3, v[6:7]
	v_mov_b32_e32 v8, s17
	v_add_co_u32_e32 v18, vcc, s16, v6
	v_addc_co_u32_e32 v19, vcc, v8, v7, vcc
	v_add_u32_e32 v8, 0x354bc, v1
	v_ashrrev_i32_e32 v9, 31, v8
	v_lshlrev_b64 v[8:9], 3, v[8:9]
	;; [unrolled: 6-line block ×3, first 2 shown]
	v_mov_b32_e32 v12, s17
	v_add_co_u32_e32 v22, vcc, s16, v10
	v_addc_co_u32_e32 v23, vcc, v12, v11, vcc
	global_load_dwordx2 v[26:27], v[18:19], off
	global_load_dwordx2 v[28:29], v[20:21], off
	global_load_dwordx2 v[12:13], v[22:23], off
	s_waitcnt vmcnt(6)
	v_mul_f64 v[18:19], v[14:15], s[8:9]
	v_cmp_nlt_f64_e32 vcc, s[22:23], v[14:15]
	v_cmp_ngt_f64_e64 s[0:1], s[24:25], v[14:15]
	v_rndne_f64_e32 v[18:19], v[18:19]
	v_fma_f64 v[20:21], v[18:19], s[12:13], v[14:15]
	v_fma_f64 v[20:21], v[18:19], s[10:11], v[20:21]
	v_cvt_i32_f64_e32 v18, v[18:19]
	v_fma_f64 v[22:23], v[20:21], s[18:19], v[4:5]
	v_fma_f64 v[22:23], v[20:21], v[22:23], s[20:21]
	;; [unrolled: 1-line block ×5, first 2 shown]
	s_waitcnt vmcnt(1)
	v_cmp_nlt_f64_e64 s[2:3], s[22:23], v[28:29]
	v_cmp_ngt_f64_e64 s[4:5], s[24:25], v[28:29]
	v_fma_f64 v[22:23], v[20:21], v[22:23], s[34:35]
	v_fma_f64 v[22:23], v[20:21], v[22:23], s[36:37]
	;; [unrolled: 1-line block ×4, first 2 shown]
	v_fma_f64 v[22:23], v[20:21], v[22:23], 1.0
	v_fma_f64 v[20:21], v[20:21], v[22:23], 1.0
	v_ldexp_f64 v[18:19], v[20:21], v18
	v_cndmask_b32_e32 v19, v25, v19, vcc
	s_and_b64 vcc, s[0:1], vcc
	v_cndmask_b32_e64 v15, 0, v19, s[0:1]
	v_cndmask_b32_e32 v14, 0, v18, vcc
	v_mul_f64 v[14:15], v[14:15], v[2:3]
	v_mul_f64 v[18:19], v[26:27], s[8:9]
	v_cmp_eq_u32_e32 vcc, 23, v0
	v_cmp_ngt_f64_e64 s[0:1], s[24:25], v[26:27]
	v_cvt_f32_f64_e32 v20, v[14:15]
	v_rndne_f64_e32 v[14:15], v[18:19]
	v_sub_f32_e32 v21, v24, v20
	v_cndmask_b32_e64 v18, -v20, v21, vcc
	v_cvt_f64_f32_e32 v[18:19], v18
	v_cmp_nlt_f64_e32 vcc, s[22:23], v[26:27]
	global_store_dwordx2 v[16:17], v[18:19], off
	v_fma_f64 v[16:17], v[14:15], s[12:13], v[26:27]
	v_fma_f64 v[16:17], v[14:15], s[10:11], v[16:17]
	v_cvt_i32_f64_e32 v14, v[14:15]
	v_fma_f64 v[18:19], v[16:17], s[18:19], v[4:5]
	v_fma_f64 v[18:19], v[16:17], v[18:19], s[20:21]
	;; [unrolled: 1-line block ×9, first 2 shown]
	v_fma_f64 v[18:19], v[16:17], v[18:19], 1.0
	v_fma_f64 v[16:17], v[16:17], v[18:19], 1.0
	v_mul_f64 v[18:19], v[28:29], s[8:9]
	v_ldexp_f64 v[14:15], v[16:17], v14
	v_rndne_f64_e32 v[16:17], v[18:19]
	v_cndmask_b32_e32 v22, v25, v15, vcc
	v_fma_f64 v[18:19], v[16:17], s[12:13], v[28:29]
	s_and_b64 vcc, s[0:1], vcc
	v_cndmask_b32_e64 v23, 0, v22, s[0:1]
	v_cndmask_b32_e32 v22, 0, v14, vcc
	s_and_b64 vcc, s[4:5], s[2:3]
	v_mul_f64 v[22:23], v[22:23], v[2:3]
	s_waitcnt vmcnt(1)
	v_cmp_ngt_f64_e64 s[0:1], s[24:25], v[12:13]
	v_fma_f64 v[18:19], v[16:17], s[10:11], v[18:19]
	v_cvt_i32_f64_e32 v17, v[16:17]
	v_mul_f64 v[15:16], v[12:13], s[8:9]
	v_cvt_f32_f64_e32 v22, v[22:23]
	v_mov_b32_e32 v23, s15
	v_fma_f64 v[20:21], v[18:19], s[18:19], v[4:5]
	v_rndne_f64_e32 v[15:16], v[15:16]
	v_fma_f64 v[20:21], v[18:19], v[20:21], s[20:21]
	v_cvt_i32_f64_e32 v14, v[15:16]
	v_fma_f64 v[20:21], v[18:19], v[20:21], s[26:27]
	v_fma_f64 v[20:21], v[18:19], v[20:21], s[28:29]
	;; [unrolled: 1-line block ×7, first 2 shown]
	v_fma_f64 v[20:21], v[18:19], v[20:21], 1.0
	v_fma_f64 v[18:19], v[18:19], v[20:21], 1.0
	v_ldexp_f64 v[17:18], v[18:19], v17
	v_cndmask_b32_e64 v26, v25, v18, s[2:3]
	v_fma_f64 v[18:19], v[15:16], s[12:13], v[12:13]
	v_cmp_eq_u32_e64 s[2:3], 24, v0
	v_fma_f64 v[18:19], v[15:16], s[10:11], v[18:19]
	v_fma_f64 v[20:21], v[18:19], s[18:19], v[4:5]
	;; [unrolled: 1-line block ×10, first 2 shown]
	v_fma_f64 v[20:21], v[18:19], v[20:21], 1.0
	v_fma_f64 v[18:19], v[18:19], v[20:21], 1.0
	v_cndmask_b32_e32 v20, 0, v17, vcc
	v_cndmask_b32_e64 v21, 0, v26, s[4:5]
	v_mul_f64 v[20:21], v[20:21], v[2:3]
	v_ldexp_f64 v[18:19], v[18:19], v14
	v_add_u32_e32 v14, 0x398f4, v1
	v_ashrrev_i32_e32 v15, 31, v14
	v_lshlrev_b64 v[16:17], 3, v[14:15]
	v_mov_b32_e32 v15, s17
	v_add_co_u32_e32 v14, vcc, s16, v16
	v_addc_co_u32_e32 v15, vcc, v15, v17, vcc
	global_load_dwordx2 v[14:15], v[14:15], off
	v_cmp_nlt_f64_e32 vcc, s[22:23], v[12:13]
	v_sub_f32_e32 v12, v24, v22
	v_cndmask_b32_e64 v12, -v22, v12, s[2:3]
	v_cvt_f64_f32_e32 v[12:13], v12
	v_cvt_f32_f64_e32 v20, v[20:21]
	v_cndmask_b32_e32 v19, v25, v19, vcc
	s_and_b64 vcc, s[0:1], vcc
	v_cndmask_b32_e64 v19, 0, v19, s[0:1]
	v_cndmask_b32_e32 v18, 0, v18, vcc
	v_mul_f64 v[18:19], v[18:19], v[2:3]
	v_add_co_u32_e32 v6, vcc, s14, v6
	v_addc_co_u32_e32 v7, vcc, v23, v7, vcc
	global_store_dwordx2 v[6:7], v[12:13], off
	v_sub_f32_e32 v6, v24, v20
	v_cmp_eq_u32_e32 vcc, 25, v0
	v_cndmask_b32_e64 v6, -v20, v6, vcc
	v_cvt_f32_f64_e32 v13, v[18:19]
	v_cvt_f64_f32_e32 v[6:7], v6
	v_mov_b32_e32 v12, s15
	v_add_co_u32_e32 v8, vcc, s14, v8
	v_addc_co_u32_e32 v9, vcc, v12, v9, vcc
	global_store_dwordx2 v[8:9], v[6:7], off
	v_sub_f32_e32 v6, v24, v13
	v_cmp_eq_u32_e32 vcc, 26, v0
	v_cndmask_b32_e64 v6, -v13, v6, vcc
	v_cvt_f64_f32_e32 v[6:7], v6
	v_mov_b32_e32 v9, s15
	v_add_co_u32_e32 v8, vcc, s14, v10
	v_addc_co_u32_e32 v9, vcc, v9, v11, vcc
	global_store_dwordx2 v[8:9], v[6:7], off
	v_mov_b32_e32 v6, s15
	v_add_co_u32_e32 v16, vcc, s14, v16
	v_addc_co_u32_e32 v17, vcc, v6, v17, vcc
	v_add_u32_e32 v6, 0x3bb10, v1
	v_ashrrev_i32_e32 v7, 31, v6
	v_lshlrev_b64 v[6:7], 3, v[6:7]
	v_mov_b32_e32 v8, s17
	v_add_co_u32_e32 v18, vcc, s16, v6
	v_addc_co_u32_e32 v19, vcc, v8, v7, vcc
	v_add_u32_e32 v8, 0x3dd2c, v1
	v_ashrrev_i32_e32 v9, 31, v8
	v_lshlrev_b64 v[8:9], 3, v[8:9]
	;; [unrolled: 6-line block ×3, first 2 shown]
	v_mov_b32_e32 v12, s17
	v_add_co_u32_e32 v22, vcc, s16, v10
	v_addc_co_u32_e32 v23, vcc, v12, v11, vcc
	global_load_dwordx2 v[26:27], v[18:19], off
	global_load_dwordx2 v[28:29], v[20:21], off
	;; [unrolled: 1-line block ×3, first 2 shown]
	s_waitcnt vmcnt(6)
	v_mul_f64 v[18:19], v[14:15], s[8:9]
	v_cmp_nlt_f64_e32 vcc, s[22:23], v[14:15]
	v_cmp_ngt_f64_e64 s[0:1], s[24:25], v[14:15]
	v_rndne_f64_e32 v[18:19], v[18:19]
	v_fma_f64 v[20:21], v[18:19], s[12:13], v[14:15]
	v_fma_f64 v[20:21], v[18:19], s[10:11], v[20:21]
	v_cvt_i32_f64_e32 v18, v[18:19]
	v_fma_f64 v[22:23], v[20:21], s[18:19], v[4:5]
	v_fma_f64 v[22:23], v[20:21], v[22:23], s[20:21]
	;; [unrolled: 1-line block ×5, first 2 shown]
	s_waitcnt vmcnt(1)
	v_cmp_nlt_f64_e64 s[2:3], s[22:23], v[28:29]
	v_cmp_ngt_f64_e64 s[4:5], s[24:25], v[28:29]
	v_fma_f64 v[22:23], v[20:21], v[22:23], s[34:35]
	v_fma_f64 v[22:23], v[20:21], v[22:23], s[36:37]
	v_fma_f64 v[22:23], v[20:21], v[22:23], s[38:39]
	v_fma_f64 v[22:23], v[20:21], v[22:23], s[40:41]
	v_fma_f64 v[22:23], v[20:21], v[22:23], 1.0
	v_fma_f64 v[20:21], v[20:21], v[22:23], 1.0
	v_ldexp_f64 v[18:19], v[20:21], v18
	v_cndmask_b32_e32 v19, v25, v19, vcc
	s_and_b64 vcc, s[0:1], vcc
	v_cndmask_b32_e64 v15, 0, v19, s[0:1]
	v_cndmask_b32_e32 v14, 0, v18, vcc
	v_mul_f64 v[14:15], v[14:15], v[2:3]
	v_mul_f64 v[18:19], v[26:27], s[8:9]
	v_cmp_eq_u32_e32 vcc, 27, v0
	v_cmp_ngt_f64_e64 s[0:1], s[24:25], v[26:27]
	v_cvt_f32_f64_e32 v20, v[14:15]
	v_rndne_f64_e32 v[14:15], v[18:19]
	v_sub_f32_e32 v21, v24, v20
	v_cndmask_b32_e64 v18, -v20, v21, vcc
	v_cvt_f64_f32_e32 v[18:19], v18
	v_cmp_nlt_f64_e32 vcc, s[22:23], v[26:27]
	global_store_dwordx2 v[16:17], v[18:19], off
	v_fma_f64 v[16:17], v[14:15], s[12:13], v[26:27]
	v_fma_f64 v[16:17], v[14:15], s[10:11], v[16:17]
	v_cvt_i32_f64_e32 v14, v[14:15]
	v_fma_f64 v[18:19], v[16:17], s[18:19], v[4:5]
	v_fma_f64 v[18:19], v[16:17], v[18:19], s[20:21]
	v_fma_f64 v[18:19], v[16:17], v[18:19], s[26:27]
	v_fma_f64 v[18:19], v[16:17], v[18:19], s[28:29]
	v_fma_f64 v[18:19], v[16:17], v[18:19], s[30:31]
	v_fma_f64 v[18:19], v[16:17], v[18:19], s[34:35]
	v_fma_f64 v[18:19], v[16:17], v[18:19], s[36:37]
	v_fma_f64 v[18:19], v[16:17], v[18:19], s[38:39]
	v_fma_f64 v[18:19], v[16:17], v[18:19], s[40:41]
	v_fma_f64 v[18:19], v[16:17], v[18:19], 1.0
	v_fma_f64 v[16:17], v[16:17], v[18:19], 1.0
	v_mul_f64 v[18:19], v[28:29], s[8:9]
	v_ldexp_f64 v[14:15], v[16:17], v14
	v_rndne_f64_e32 v[16:17], v[18:19]
	v_cndmask_b32_e32 v22, v25, v15, vcc
	v_fma_f64 v[18:19], v[16:17], s[12:13], v[28:29]
	s_and_b64 vcc, s[0:1], vcc
	v_cndmask_b32_e64 v23, 0, v22, s[0:1]
	v_cndmask_b32_e32 v22, 0, v14, vcc
	s_and_b64 vcc, s[4:5], s[2:3]
	v_mul_f64 v[22:23], v[22:23], v[2:3]
	s_waitcnt vmcnt(1)
	v_cmp_ngt_f64_e64 s[0:1], s[24:25], v[12:13]
	v_fma_f64 v[18:19], v[16:17], s[10:11], v[18:19]
	v_cvt_i32_f64_e32 v17, v[16:17]
	v_mul_f64 v[15:16], v[12:13], s[8:9]
	v_cvt_f32_f64_e32 v22, v[22:23]
	v_mov_b32_e32 v23, s15
	v_fma_f64 v[20:21], v[18:19], s[18:19], v[4:5]
	v_rndne_f64_e32 v[15:16], v[15:16]
	v_fma_f64 v[20:21], v[18:19], v[20:21], s[20:21]
	v_cvt_i32_f64_e32 v14, v[15:16]
	v_fma_f64 v[20:21], v[18:19], v[20:21], s[26:27]
	v_fma_f64 v[20:21], v[18:19], v[20:21], s[28:29]
	;; [unrolled: 1-line block ×7, first 2 shown]
	v_fma_f64 v[20:21], v[18:19], v[20:21], 1.0
	v_fma_f64 v[18:19], v[18:19], v[20:21], 1.0
	v_ldexp_f64 v[17:18], v[18:19], v17
	v_cndmask_b32_e64 v26, v25, v18, s[2:3]
	v_fma_f64 v[18:19], v[15:16], s[12:13], v[12:13]
	v_cmp_eq_u32_e64 s[2:3], 28, v0
	v_fma_f64 v[18:19], v[15:16], s[10:11], v[18:19]
	v_fma_f64 v[20:21], v[18:19], s[18:19], v[4:5]
	;; [unrolled: 1-line block ×10, first 2 shown]
	v_fma_f64 v[20:21], v[18:19], v[20:21], 1.0
	v_fma_f64 v[18:19], v[18:19], v[20:21], 1.0
	v_cndmask_b32_e32 v20, 0, v17, vcc
	v_cndmask_b32_e64 v21, 0, v26, s[4:5]
	v_mul_f64 v[20:21], v[20:21], v[2:3]
	v_ldexp_f64 v[18:19], v[18:19], v14
	v_add_u32_e32 v14, 0x42164, v1
	v_ashrrev_i32_e32 v15, 31, v14
	v_lshlrev_b64 v[16:17], 3, v[14:15]
	v_mov_b32_e32 v15, s17
	v_add_co_u32_e32 v14, vcc, s16, v16
	v_addc_co_u32_e32 v15, vcc, v15, v17, vcc
	global_load_dwordx2 v[14:15], v[14:15], off
	v_cmp_nlt_f64_e32 vcc, s[22:23], v[12:13]
	v_sub_f32_e32 v12, v24, v22
	v_cndmask_b32_e64 v12, -v22, v12, s[2:3]
	v_cvt_f64_f32_e32 v[12:13], v12
	v_cvt_f32_f64_e32 v20, v[20:21]
	v_cndmask_b32_e32 v19, v25, v19, vcc
	s_and_b64 vcc, s[0:1], vcc
	v_cndmask_b32_e64 v19, 0, v19, s[0:1]
	v_cndmask_b32_e32 v18, 0, v18, vcc
	v_mul_f64 v[18:19], v[18:19], v[2:3]
	v_add_co_u32_e32 v6, vcc, s14, v6
	v_addc_co_u32_e32 v7, vcc, v23, v7, vcc
	global_store_dwordx2 v[6:7], v[12:13], off
	v_sub_f32_e32 v6, v24, v20
	v_cmp_eq_u32_e32 vcc, 29, v0
	v_cndmask_b32_e64 v6, -v20, v6, vcc
	v_cvt_f32_f64_e32 v13, v[18:19]
	v_cvt_f64_f32_e32 v[6:7], v6
	v_mov_b32_e32 v12, s15
	v_add_co_u32_e32 v8, vcc, s14, v8
	v_addc_co_u32_e32 v9, vcc, v12, v9, vcc
	global_store_dwordx2 v[8:9], v[6:7], off
	v_sub_f32_e32 v6, v24, v13
	v_cmp_eq_u32_e32 vcc, 30, v0
	v_cndmask_b32_e64 v6, -v13, v6, vcc
	v_cvt_f64_f32_e32 v[6:7], v6
	v_mov_b32_e32 v9, s15
	v_add_co_u32_e32 v8, vcc, s14, v10
	v_addc_co_u32_e32 v9, vcc, v9, v11, vcc
	global_store_dwordx2 v[8:9], v[6:7], off
	v_mov_b32_e32 v6, s15
	v_add_co_u32_e32 v16, vcc, s14, v16
	v_addc_co_u32_e32 v17, vcc, v6, v17, vcc
	v_add_u32_e32 v6, 0x44380, v1
	v_ashrrev_i32_e32 v7, 31, v6
	v_lshlrev_b64 v[6:7], 3, v[6:7]
	v_mov_b32_e32 v8, s17
	v_add_co_u32_e32 v18, vcc, s16, v6
	v_addc_co_u32_e32 v19, vcc, v8, v7, vcc
	v_add_u32_e32 v8, 0x4659c, v1
	v_ashrrev_i32_e32 v9, 31, v8
	v_lshlrev_b64 v[8:9], 3, v[8:9]
	;; [unrolled: 6-line block ×3, first 2 shown]
	v_mov_b32_e32 v12, s17
	v_add_co_u32_e32 v22, vcc, s16, v10
	v_addc_co_u32_e32 v23, vcc, v12, v11, vcc
	global_load_dwordx2 v[26:27], v[18:19], off
	global_load_dwordx2 v[28:29], v[20:21], off
	global_load_dwordx2 v[12:13], v[22:23], off
	s_waitcnt vmcnt(6)
	v_mul_f64 v[18:19], v[14:15], s[8:9]
	v_cmp_nlt_f64_e32 vcc, s[22:23], v[14:15]
	v_cmp_ngt_f64_e64 s[0:1], s[24:25], v[14:15]
	v_rndne_f64_e32 v[18:19], v[18:19]
	v_fma_f64 v[20:21], v[18:19], s[12:13], v[14:15]
	v_fma_f64 v[20:21], v[18:19], s[10:11], v[20:21]
	v_cvt_i32_f64_e32 v18, v[18:19]
	v_fma_f64 v[22:23], v[20:21], s[18:19], v[4:5]
	v_fma_f64 v[22:23], v[20:21], v[22:23], s[20:21]
	;; [unrolled: 1-line block ×5, first 2 shown]
	s_waitcnt vmcnt(1)
	v_cmp_nlt_f64_e64 s[2:3], s[22:23], v[28:29]
	v_cmp_ngt_f64_e64 s[4:5], s[24:25], v[28:29]
	v_fma_f64 v[22:23], v[20:21], v[22:23], s[34:35]
	v_fma_f64 v[22:23], v[20:21], v[22:23], s[36:37]
	v_fma_f64 v[22:23], v[20:21], v[22:23], s[38:39]
	v_fma_f64 v[22:23], v[20:21], v[22:23], s[40:41]
	v_fma_f64 v[22:23], v[20:21], v[22:23], 1.0
	v_fma_f64 v[20:21], v[20:21], v[22:23], 1.0
	v_ldexp_f64 v[18:19], v[20:21], v18
	v_cndmask_b32_e32 v19, v25, v19, vcc
	s_and_b64 vcc, s[0:1], vcc
	v_cndmask_b32_e64 v15, 0, v19, s[0:1]
	v_cndmask_b32_e32 v14, 0, v18, vcc
	v_mul_f64 v[14:15], v[14:15], v[2:3]
	v_mul_f64 v[18:19], v[26:27], s[8:9]
	v_cmp_eq_u32_e32 vcc, 31, v0
	v_cmp_ngt_f64_e64 s[0:1], s[24:25], v[26:27]
	v_cvt_f32_f64_e32 v20, v[14:15]
	v_rndne_f64_e32 v[14:15], v[18:19]
	v_sub_f32_e32 v21, v24, v20
	v_cndmask_b32_e64 v18, -v20, v21, vcc
	v_cvt_f64_f32_e32 v[18:19], v18
	v_cmp_nlt_f64_e32 vcc, s[22:23], v[26:27]
	global_store_dwordx2 v[16:17], v[18:19], off
	v_fma_f64 v[16:17], v[14:15], s[12:13], v[26:27]
	v_fma_f64 v[16:17], v[14:15], s[10:11], v[16:17]
	v_cvt_i32_f64_e32 v14, v[14:15]
	v_fma_f64 v[18:19], v[16:17], s[18:19], v[4:5]
	v_fma_f64 v[18:19], v[16:17], v[18:19], s[20:21]
	;; [unrolled: 1-line block ×9, first 2 shown]
	v_fma_f64 v[18:19], v[16:17], v[18:19], 1.0
	v_fma_f64 v[16:17], v[16:17], v[18:19], 1.0
	v_mul_f64 v[18:19], v[28:29], s[8:9]
	v_ldexp_f64 v[14:15], v[16:17], v14
	v_rndne_f64_e32 v[16:17], v[18:19]
	v_cndmask_b32_e32 v22, v25, v15, vcc
	v_fma_f64 v[18:19], v[16:17], s[12:13], v[28:29]
	s_and_b64 vcc, s[0:1], vcc
	v_cndmask_b32_e64 v23, 0, v22, s[0:1]
	v_cndmask_b32_e32 v22, 0, v14, vcc
	s_and_b64 vcc, s[4:5], s[2:3]
	v_mul_f64 v[22:23], v[22:23], v[2:3]
	s_waitcnt vmcnt(1)
	v_cmp_ngt_f64_e64 s[0:1], s[24:25], v[12:13]
	v_fma_f64 v[18:19], v[16:17], s[10:11], v[18:19]
	v_cvt_i32_f64_e32 v17, v[16:17]
	v_mul_f64 v[15:16], v[12:13], s[8:9]
	v_cvt_f32_f64_e32 v22, v[22:23]
	v_mov_b32_e32 v23, s15
	v_fma_f64 v[20:21], v[18:19], s[18:19], v[4:5]
	v_rndne_f64_e32 v[15:16], v[15:16]
	v_fma_f64 v[20:21], v[18:19], v[20:21], s[20:21]
	v_cvt_i32_f64_e32 v14, v[15:16]
	v_fma_f64 v[20:21], v[18:19], v[20:21], s[26:27]
	v_fma_f64 v[20:21], v[18:19], v[20:21], s[28:29]
	;; [unrolled: 1-line block ×7, first 2 shown]
	v_fma_f64 v[20:21], v[18:19], v[20:21], 1.0
	v_fma_f64 v[18:19], v[18:19], v[20:21], 1.0
	v_ldexp_f64 v[17:18], v[18:19], v17
	v_cndmask_b32_e64 v26, v25, v18, s[2:3]
	v_fma_f64 v[18:19], v[15:16], s[12:13], v[12:13]
	v_cmp_eq_u32_e64 s[2:3], 32, v0
	v_fma_f64 v[18:19], v[15:16], s[10:11], v[18:19]
	v_fma_f64 v[20:21], v[18:19], s[18:19], v[4:5]
	;; [unrolled: 1-line block ×10, first 2 shown]
	v_fma_f64 v[20:21], v[18:19], v[20:21], 1.0
	v_fma_f64 v[18:19], v[18:19], v[20:21], 1.0
	v_cndmask_b32_e32 v20, 0, v17, vcc
	v_cndmask_b32_e64 v21, 0, v26, s[4:5]
	v_mul_f64 v[20:21], v[20:21], v[2:3]
	v_ldexp_f64 v[18:19], v[18:19], v14
	v_add_u32_e32 v14, 0x4a9d4, v1
	v_ashrrev_i32_e32 v15, 31, v14
	v_lshlrev_b64 v[16:17], 3, v[14:15]
	v_mov_b32_e32 v15, s17
	v_add_co_u32_e32 v14, vcc, s16, v16
	v_addc_co_u32_e32 v15, vcc, v15, v17, vcc
	global_load_dwordx2 v[14:15], v[14:15], off
	v_cmp_nlt_f64_e32 vcc, s[22:23], v[12:13]
	v_sub_f32_e32 v12, v24, v22
	v_cndmask_b32_e64 v12, -v22, v12, s[2:3]
	v_cvt_f64_f32_e32 v[12:13], v12
	v_cvt_f32_f64_e32 v20, v[20:21]
	v_cndmask_b32_e32 v19, v25, v19, vcc
	s_and_b64 vcc, s[0:1], vcc
	v_cndmask_b32_e64 v19, 0, v19, s[0:1]
	v_cndmask_b32_e32 v18, 0, v18, vcc
	v_mul_f64 v[18:19], v[18:19], v[2:3]
	v_add_co_u32_e32 v6, vcc, s14, v6
	v_addc_co_u32_e32 v7, vcc, v23, v7, vcc
	global_store_dwordx2 v[6:7], v[12:13], off
	v_sub_f32_e32 v6, v24, v20
	v_cmp_eq_u32_e32 vcc, 33, v0
	v_cndmask_b32_e64 v6, -v20, v6, vcc
	v_cvt_f32_f64_e32 v13, v[18:19]
	v_cvt_f64_f32_e32 v[6:7], v6
	v_mov_b32_e32 v12, s15
	v_add_co_u32_e32 v8, vcc, s14, v8
	v_addc_co_u32_e32 v9, vcc, v12, v9, vcc
	global_store_dwordx2 v[8:9], v[6:7], off
	v_sub_f32_e32 v6, v24, v13
	v_cmp_eq_u32_e32 vcc, 34, v0
	v_cndmask_b32_e64 v6, -v13, v6, vcc
	v_cvt_f64_f32_e32 v[6:7], v6
	v_mov_b32_e32 v9, s15
	v_add_co_u32_e32 v8, vcc, s14, v10
	v_addc_co_u32_e32 v9, vcc, v9, v11, vcc
	global_store_dwordx2 v[8:9], v[6:7], off
	v_mov_b32_e32 v6, s15
	v_add_co_u32_e32 v16, vcc, s14, v16
	v_addc_co_u32_e32 v17, vcc, v6, v17, vcc
	v_add_u32_e32 v6, 0x4cbf0, v1
	v_ashrrev_i32_e32 v7, 31, v6
	v_lshlrev_b64 v[6:7], 3, v[6:7]
	v_mov_b32_e32 v8, s17
	v_add_co_u32_e32 v18, vcc, s16, v6
	v_addc_co_u32_e32 v19, vcc, v8, v7, vcc
	v_add_u32_e32 v8, 0x4ee0c, v1
	v_ashrrev_i32_e32 v9, 31, v8
	v_lshlrev_b64 v[8:9], 3, v[8:9]
	;; [unrolled: 6-line block ×3, first 2 shown]
	v_mov_b32_e32 v12, s17
	v_add_co_u32_e32 v22, vcc, s16, v10
	v_addc_co_u32_e32 v23, vcc, v12, v11, vcc
	global_load_dwordx2 v[26:27], v[18:19], off
	global_load_dwordx2 v[28:29], v[20:21], off
	;; [unrolled: 1-line block ×3, first 2 shown]
	s_waitcnt vmcnt(6)
	v_mul_f64 v[18:19], v[14:15], s[8:9]
	v_cmp_nlt_f64_e32 vcc, s[22:23], v[14:15]
	v_cmp_ngt_f64_e64 s[0:1], s[24:25], v[14:15]
	v_rndne_f64_e32 v[18:19], v[18:19]
	v_fma_f64 v[20:21], v[18:19], s[12:13], v[14:15]
	v_fma_f64 v[20:21], v[18:19], s[10:11], v[20:21]
	v_cvt_i32_f64_e32 v18, v[18:19]
	v_fma_f64 v[22:23], v[20:21], s[18:19], v[4:5]
	v_fma_f64 v[22:23], v[20:21], v[22:23], s[20:21]
	;; [unrolled: 1-line block ×5, first 2 shown]
	s_waitcnt vmcnt(1)
	v_cmp_nlt_f64_e64 s[2:3], s[22:23], v[28:29]
	v_cmp_ngt_f64_e64 s[4:5], s[24:25], v[28:29]
	v_fma_f64 v[22:23], v[20:21], v[22:23], s[34:35]
	v_fma_f64 v[22:23], v[20:21], v[22:23], s[36:37]
	;; [unrolled: 1-line block ×4, first 2 shown]
	v_fma_f64 v[22:23], v[20:21], v[22:23], 1.0
	v_fma_f64 v[20:21], v[20:21], v[22:23], 1.0
	v_ldexp_f64 v[18:19], v[20:21], v18
	v_cndmask_b32_e32 v19, v25, v19, vcc
	s_and_b64 vcc, s[0:1], vcc
	v_cndmask_b32_e64 v15, 0, v19, s[0:1]
	v_cndmask_b32_e32 v14, 0, v18, vcc
	v_mul_f64 v[14:15], v[14:15], v[2:3]
	v_mul_f64 v[18:19], v[26:27], s[8:9]
	v_cmp_eq_u32_e32 vcc, 35, v0
	v_cmp_ngt_f64_e64 s[0:1], s[24:25], v[26:27]
	v_cvt_f32_f64_e32 v20, v[14:15]
	v_rndne_f64_e32 v[14:15], v[18:19]
	v_sub_f32_e32 v21, v24, v20
	v_cndmask_b32_e64 v18, -v20, v21, vcc
	v_cvt_f64_f32_e32 v[18:19], v18
	v_cmp_nlt_f64_e32 vcc, s[22:23], v[26:27]
	global_store_dwordx2 v[16:17], v[18:19], off
	v_fma_f64 v[16:17], v[14:15], s[12:13], v[26:27]
	v_fma_f64 v[16:17], v[14:15], s[10:11], v[16:17]
	v_cvt_i32_f64_e32 v14, v[14:15]
	v_fma_f64 v[18:19], v[16:17], s[18:19], v[4:5]
	v_fma_f64 v[18:19], v[16:17], v[18:19], s[20:21]
	;; [unrolled: 1-line block ×9, first 2 shown]
	v_fma_f64 v[18:19], v[16:17], v[18:19], 1.0
	v_fma_f64 v[16:17], v[16:17], v[18:19], 1.0
	v_mul_f64 v[18:19], v[28:29], s[8:9]
	v_ldexp_f64 v[14:15], v[16:17], v14
	v_rndne_f64_e32 v[16:17], v[18:19]
	v_cndmask_b32_e32 v22, v25, v15, vcc
	v_fma_f64 v[18:19], v[16:17], s[12:13], v[28:29]
	s_and_b64 vcc, s[0:1], vcc
	v_cndmask_b32_e64 v23, 0, v22, s[0:1]
	v_cndmask_b32_e32 v22, 0, v14, vcc
	s_and_b64 vcc, s[4:5], s[2:3]
	v_mul_f64 v[22:23], v[22:23], v[2:3]
	s_waitcnt vmcnt(1)
	v_cmp_ngt_f64_e64 s[0:1], s[24:25], v[12:13]
	v_fma_f64 v[18:19], v[16:17], s[10:11], v[18:19]
	v_cvt_i32_f64_e32 v17, v[16:17]
	v_mul_f64 v[15:16], v[12:13], s[8:9]
	v_cvt_f32_f64_e32 v22, v[22:23]
	v_mov_b32_e32 v23, s15
	v_fma_f64 v[20:21], v[18:19], s[18:19], v[4:5]
	v_rndne_f64_e32 v[15:16], v[15:16]
	v_fma_f64 v[20:21], v[18:19], v[20:21], s[20:21]
	v_cvt_i32_f64_e32 v14, v[15:16]
	v_fma_f64 v[20:21], v[18:19], v[20:21], s[26:27]
	v_fma_f64 v[20:21], v[18:19], v[20:21], s[28:29]
	;; [unrolled: 1-line block ×7, first 2 shown]
	v_fma_f64 v[20:21], v[18:19], v[20:21], 1.0
	v_fma_f64 v[18:19], v[18:19], v[20:21], 1.0
	v_ldexp_f64 v[17:18], v[18:19], v17
	v_cndmask_b32_e64 v26, v25, v18, s[2:3]
	v_fma_f64 v[18:19], v[15:16], s[12:13], v[12:13]
	v_cmp_eq_u32_e64 s[2:3], 36, v0
	v_fma_f64 v[18:19], v[15:16], s[10:11], v[18:19]
	v_fma_f64 v[20:21], v[18:19], s[18:19], v[4:5]
	;; [unrolled: 1-line block ×10, first 2 shown]
	v_fma_f64 v[20:21], v[18:19], v[20:21], 1.0
	v_fma_f64 v[18:19], v[18:19], v[20:21], 1.0
	v_cndmask_b32_e32 v20, 0, v17, vcc
	v_cndmask_b32_e64 v21, 0, v26, s[4:5]
	v_mul_f64 v[20:21], v[20:21], v[2:3]
	v_ldexp_f64 v[18:19], v[18:19], v14
	v_add_u32_e32 v14, 0x53244, v1
	v_ashrrev_i32_e32 v15, 31, v14
	v_lshlrev_b64 v[16:17], 3, v[14:15]
	v_mov_b32_e32 v15, s17
	v_add_co_u32_e32 v14, vcc, s16, v16
	v_addc_co_u32_e32 v15, vcc, v15, v17, vcc
	global_load_dwordx2 v[14:15], v[14:15], off
	v_cmp_nlt_f64_e32 vcc, s[22:23], v[12:13]
	v_sub_f32_e32 v12, v24, v22
	v_cndmask_b32_e64 v12, -v22, v12, s[2:3]
	v_cvt_f64_f32_e32 v[12:13], v12
	v_cvt_f32_f64_e32 v20, v[20:21]
	v_cndmask_b32_e32 v19, v25, v19, vcc
	s_and_b64 vcc, s[0:1], vcc
	v_cndmask_b32_e64 v19, 0, v19, s[0:1]
	v_cndmask_b32_e32 v18, 0, v18, vcc
	v_mul_f64 v[18:19], v[18:19], v[2:3]
	v_add_co_u32_e32 v6, vcc, s14, v6
	v_addc_co_u32_e32 v7, vcc, v23, v7, vcc
	global_store_dwordx2 v[6:7], v[12:13], off
	v_sub_f32_e32 v6, v24, v20
	v_cmp_eq_u32_e32 vcc, 37, v0
	v_cndmask_b32_e64 v6, -v20, v6, vcc
	v_cvt_f32_f64_e32 v13, v[18:19]
	v_cvt_f64_f32_e32 v[6:7], v6
	v_mov_b32_e32 v12, s15
	v_add_co_u32_e32 v8, vcc, s14, v8
	v_addc_co_u32_e32 v9, vcc, v12, v9, vcc
	global_store_dwordx2 v[8:9], v[6:7], off
	v_sub_f32_e32 v6, v24, v13
	v_cmp_eq_u32_e32 vcc, 38, v0
	v_cndmask_b32_e64 v6, -v13, v6, vcc
	v_cvt_f64_f32_e32 v[6:7], v6
	v_mov_b32_e32 v9, s15
	v_add_co_u32_e32 v8, vcc, s14, v10
	v_addc_co_u32_e32 v9, vcc, v9, v11, vcc
	global_store_dwordx2 v[8:9], v[6:7], off
	v_mov_b32_e32 v6, s15
	v_add_co_u32_e32 v16, vcc, s14, v16
	v_addc_co_u32_e32 v17, vcc, v6, v17, vcc
	v_add_u32_e32 v6, 0x55460, v1
	v_ashrrev_i32_e32 v7, 31, v6
	v_lshlrev_b64 v[6:7], 3, v[6:7]
	v_mov_b32_e32 v8, s17
	v_add_co_u32_e32 v18, vcc, s16, v6
	v_addc_co_u32_e32 v19, vcc, v8, v7, vcc
	v_add_u32_e32 v8, 0x5767c, v1
	v_ashrrev_i32_e32 v9, 31, v8
	v_lshlrev_b64 v[8:9], 3, v[8:9]
	;; [unrolled: 6-line block ×3, first 2 shown]
	v_mov_b32_e32 v12, s17
	v_add_co_u32_e32 v22, vcc, s16, v10
	v_addc_co_u32_e32 v23, vcc, v12, v11, vcc
	global_load_dwordx2 v[26:27], v[18:19], off
	global_load_dwordx2 v[28:29], v[20:21], off
	;; [unrolled: 1-line block ×3, first 2 shown]
	s_waitcnt vmcnt(6)
	v_mul_f64 v[18:19], v[14:15], s[8:9]
	v_cmp_nlt_f64_e32 vcc, s[22:23], v[14:15]
	v_cmp_ngt_f64_e64 s[0:1], s[24:25], v[14:15]
	v_rndne_f64_e32 v[18:19], v[18:19]
	v_fma_f64 v[20:21], v[18:19], s[12:13], v[14:15]
	v_fma_f64 v[20:21], v[18:19], s[10:11], v[20:21]
	v_cvt_i32_f64_e32 v18, v[18:19]
	v_fma_f64 v[22:23], v[20:21], s[18:19], v[4:5]
	v_fma_f64 v[22:23], v[20:21], v[22:23], s[20:21]
	;; [unrolled: 1-line block ×5, first 2 shown]
	s_waitcnt vmcnt(1)
	v_cmp_nlt_f64_e64 s[2:3], s[22:23], v[28:29]
	v_cmp_ngt_f64_e64 s[4:5], s[24:25], v[28:29]
	v_fma_f64 v[22:23], v[20:21], v[22:23], s[34:35]
	v_fma_f64 v[22:23], v[20:21], v[22:23], s[36:37]
	;; [unrolled: 1-line block ×4, first 2 shown]
	v_fma_f64 v[22:23], v[20:21], v[22:23], 1.0
	v_fma_f64 v[20:21], v[20:21], v[22:23], 1.0
	v_ldexp_f64 v[18:19], v[20:21], v18
	v_cndmask_b32_e32 v19, v25, v19, vcc
	s_and_b64 vcc, s[0:1], vcc
	v_cndmask_b32_e64 v15, 0, v19, s[0:1]
	v_cndmask_b32_e32 v14, 0, v18, vcc
	v_mul_f64 v[14:15], v[14:15], v[2:3]
	v_mul_f64 v[18:19], v[26:27], s[8:9]
	v_cmp_eq_u32_e32 vcc, 39, v0
	v_cmp_ngt_f64_e64 s[0:1], s[24:25], v[26:27]
	v_cvt_f32_f64_e32 v20, v[14:15]
	v_rndne_f64_e32 v[14:15], v[18:19]
	v_sub_f32_e32 v21, v24, v20
	v_cndmask_b32_e64 v18, -v20, v21, vcc
	v_cvt_f64_f32_e32 v[18:19], v18
	v_cmp_nlt_f64_e32 vcc, s[22:23], v[26:27]
	global_store_dwordx2 v[16:17], v[18:19], off
	v_fma_f64 v[16:17], v[14:15], s[12:13], v[26:27]
	v_fma_f64 v[16:17], v[14:15], s[10:11], v[16:17]
	v_cvt_i32_f64_e32 v14, v[14:15]
	v_fma_f64 v[18:19], v[16:17], s[18:19], v[4:5]
	v_fma_f64 v[18:19], v[16:17], v[18:19], s[20:21]
	;; [unrolled: 1-line block ×9, first 2 shown]
	v_fma_f64 v[18:19], v[16:17], v[18:19], 1.0
	v_fma_f64 v[16:17], v[16:17], v[18:19], 1.0
	v_mul_f64 v[18:19], v[28:29], s[8:9]
	v_ldexp_f64 v[14:15], v[16:17], v14
	v_rndne_f64_e32 v[16:17], v[18:19]
	v_cndmask_b32_e32 v22, v25, v15, vcc
	v_fma_f64 v[18:19], v[16:17], s[12:13], v[28:29]
	s_and_b64 vcc, s[0:1], vcc
	v_cndmask_b32_e64 v23, 0, v22, s[0:1]
	v_cndmask_b32_e32 v22, 0, v14, vcc
	s_and_b64 vcc, s[4:5], s[2:3]
	v_mul_f64 v[22:23], v[22:23], v[2:3]
	s_waitcnt vmcnt(1)
	v_cmp_ngt_f64_e64 s[0:1], s[24:25], v[12:13]
	v_fma_f64 v[18:19], v[16:17], s[10:11], v[18:19]
	v_cvt_i32_f64_e32 v17, v[16:17]
	v_mul_f64 v[15:16], v[12:13], s[8:9]
	v_cvt_f32_f64_e32 v22, v[22:23]
	v_mov_b32_e32 v23, s15
	v_fma_f64 v[20:21], v[18:19], s[18:19], v[4:5]
	v_rndne_f64_e32 v[15:16], v[15:16]
	v_fma_f64 v[20:21], v[18:19], v[20:21], s[20:21]
	v_cvt_i32_f64_e32 v14, v[15:16]
	v_fma_f64 v[20:21], v[18:19], v[20:21], s[26:27]
	v_fma_f64 v[20:21], v[18:19], v[20:21], s[28:29]
	v_fma_f64 v[20:21], v[18:19], v[20:21], s[30:31]
	v_fma_f64 v[20:21], v[18:19], v[20:21], s[34:35]
	v_fma_f64 v[20:21], v[18:19], v[20:21], s[36:37]
	v_fma_f64 v[20:21], v[18:19], v[20:21], s[38:39]
	v_fma_f64 v[20:21], v[18:19], v[20:21], s[40:41]
	v_fma_f64 v[20:21], v[18:19], v[20:21], 1.0
	v_fma_f64 v[18:19], v[18:19], v[20:21], 1.0
	v_ldexp_f64 v[17:18], v[18:19], v17
	v_cndmask_b32_e64 v26, v25, v18, s[2:3]
	v_fma_f64 v[18:19], v[15:16], s[12:13], v[12:13]
	v_cmp_eq_u32_e64 s[2:3], 40, v0
	v_fma_f64 v[18:19], v[15:16], s[10:11], v[18:19]
	v_fma_f64 v[20:21], v[18:19], s[18:19], v[4:5]
	;; [unrolled: 1-line block ×10, first 2 shown]
	v_fma_f64 v[20:21], v[18:19], v[20:21], 1.0
	v_fma_f64 v[18:19], v[18:19], v[20:21], 1.0
	v_cndmask_b32_e32 v20, 0, v17, vcc
	v_cndmask_b32_e64 v21, 0, v26, s[4:5]
	v_mul_f64 v[20:21], v[20:21], v[2:3]
	v_ldexp_f64 v[18:19], v[18:19], v14
	v_add_u32_e32 v14, 0x5bab4, v1
	v_ashrrev_i32_e32 v15, 31, v14
	v_lshlrev_b64 v[16:17], 3, v[14:15]
	v_mov_b32_e32 v15, s17
	v_add_co_u32_e32 v14, vcc, s16, v16
	v_addc_co_u32_e32 v15, vcc, v15, v17, vcc
	global_load_dwordx2 v[14:15], v[14:15], off
	v_cmp_nlt_f64_e32 vcc, s[22:23], v[12:13]
	v_sub_f32_e32 v12, v24, v22
	v_cndmask_b32_e64 v12, -v22, v12, s[2:3]
	v_cvt_f64_f32_e32 v[12:13], v12
	v_cvt_f32_f64_e32 v20, v[20:21]
	v_cndmask_b32_e32 v19, v25, v19, vcc
	s_and_b64 vcc, s[0:1], vcc
	v_cndmask_b32_e64 v19, 0, v19, s[0:1]
	v_cndmask_b32_e32 v18, 0, v18, vcc
	v_mul_f64 v[18:19], v[18:19], v[2:3]
	v_add_co_u32_e32 v6, vcc, s14, v6
	v_addc_co_u32_e32 v7, vcc, v23, v7, vcc
	global_store_dwordx2 v[6:7], v[12:13], off
	v_sub_f32_e32 v6, v24, v20
	v_cmp_eq_u32_e32 vcc, 41, v0
	v_cndmask_b32_e64 v6, -v20, v6, vcc
	v_cvt_f32_f64_e32 v13, v[18:19]
	v_cvt_f64_f32_e32 v[6:7], v6
	v_mov_b32_e32 v12, s15
	v_add_co_u32_e32 v8, vcc, s14, v8
	v_addc_co_u32_e32 v9, vcc, v12, v9, vcc
	global_store_dwordx2 v[8:9], v[6:7], off
	v_sub_f32_e32 v6, v24, v13
	v_cmp_eq_u32_e32 vcc, 42, v0
	v_cndmask_b32_e64 v6, -v13, v6, vcc
	v_cvt_f64_f32_e32 v[6:7], v6
	v_mov_b32_e32 v9, s15
	v_add_co_u32_e32 v8, vcc, s14, v10
	v_addc_co_u32_e32 v9, vcc, v9, v11, vcc
	global_store_dwordx2 v[8:9], v[6:7], off
	v_mov_b32_e32 v6, s15
	v_add_co_u32_e32 v16, vcc, s14, v16
	v_addc_co_u32_e32 v17, vcc, v6, v17, vcc
	v_add_u32_e32 v6, 0x5dcd0, v1
	v_ashrrev_i32_e32 v7, 31, v6
	v_lshlrev_b64 v[6:7], 3, v[6:7]
	v_mov_b32_e32 v8, s17
	v_add_co_u32_e32 v18, vcc, s16, v6
	v_addc_co_u32_e32 v19, vcc, v8, v7, vcc
	v_add_u32_e32 v8, 0x5feec, v1
	v_ashrrev_i32_e32 v9, 31, v8
	v_lshlrev_b64 v[8:9], 3, v[8:9]
	v_mov_b32_e32 v10, s17
	v_add_co_u32_e32 v20, vcc, s16, v8
	v_addc_co_u32_e32 v21, vcc, v10, v9, vcc
	v_add_u32_e32 v10, 0x62108, v1
	v_ashrrev_i32_e32 v11, 31, v10
	v_lshlrev_b64 v[10:11], 3, v[10:11]
	v_mov_b32_e32 v12, s17
	v_add_co_u32_e32 v22, vcc, s16, v10
	v_addc_co_u32_e32 v23, vcc, v12, v11, vcc
	global_load_dwordx2 v[26:27], v[18:19], off
	global_load_dwordx2 v[28:29], v[20:21], off
	global_load_dwordx2 v[12:13], v[22:23], off
	s_waitcnt vmcnt(6)
	v_mul_f64 v[18:19], v[14:15], s[8:9]
	v_cmp_nlt_f64_e32 vcc, s[22:23], v[14:15]
	v_cmp_ngt_f64_e64 s[0:1], s[24:25], v[14:15]
	v_rndne_f64_e32 v[18:19], v[18:19]
	v_fma_f64 v[20:21], v[18:19], s[12:13], v[14:15]
	v_fma_f64 v[20:21], v[18:19], s[10:11], v[20:21]
	v_cvt_i32_f64_e32 v18, v[18:19]
	v_fma_f64 v[22:23], v[20:21], s[18:19], v[4:5]
	v_fma_f64 v[22:23], v[20:21], v[22:23], s[20:21]
	;; [unrolled: 1-line block ×5, first 2 shown]
	s_waitcnt vmcnt(1)
	v_cmp_nlt_f64_e64 s[2:3], s[22:23], v[28:29]
	v_cmp_ngt_f64_e64 s[4:5], s[24:25], v[28:29]
	v_fma_f64 v[22:23], v[20:21], v[22:23], s[34:35]
	v_fma_f64 v[22:23], v[20:21], v[22:23], s[36:37]
	;; [unrolled: 1-line block ×4, first 2 shown]
	v_fma_f64 v[22:23], v[20:21], v[22:23], 1.0
	v_fma_f64 v[20:21], v[20:21], v[22:23], 1.0
	v_ldexp_f64 v[18:19], v[20:21], v18
	v_cndmask_b32_e32 v19, v25, v19, vcc
	s_and_b64 vcc, s[0:1], vcc
	v_cndmask_b32_e64 v15, 0, v19, s[0:1]
	v_cndmask_b32_e32 v14, 0, v18, vcc
	v_mul_f64 v[14:15], v[14:15], v[2:3]
	v_mul_f64 v[18:19], v[26:27], s[8:9]
	v_cmp_eq_u32_e32 vcc, 43, v0
	v_cmp_ngt_f64_e64 s[0:1], s[24:25], v[26:27]
	v_cvt_f32_f64_e32 v20, v[14:15]
	v_rndne_f64_e32 v[14:15], v[18:19]
	v_sub_f32_e32 v21, v24, v20
	v_cndmask_b32_e64 v18, -v20, v21, vcc
	v_cvt_f64_f32_e32 v[18:19], v18
	v_cmp_nlt_f64_e32 vcc, s[22:23], v[26:27]
	global_store_dwordx2 v[16:17], v[18:19], off
	v_fma_f64 v[16:17], v[14:15], s[12:13], v[26:27]
	v_fma_f64 v[16:17], v[14:15], s[10:11], v[16:17]
	v_cvt_i32_f64_e32 v14, v[14:15]
	v_fma_f64 v[18:19], v[16:17], s[18:19], v[4:5]
	v_fma_f64 v[18:19], v[16:17], v[18:19], s[20:21]
	;; [unrolled: 1-line block ×9, first 2 shown]
	v_fma_f64 v[18:19], v[16:17], v[18:19], 1.0
	v_fma_f64 v[16:17], v[16:17], v[18:19], 1.0
	v_mul_f64 v[18:19], v[28:29], s[8:9]
	v_ldexp_f64 v[14:15], v[16:17], v14
	v_rndne_f64_e32 v[16:17], v[18:19]
	v_cndmask_b32_e32 v22, v25, v15, vcc
	v_fma_f64 v[18:19], v[16:17], s[12:13], v[28:29]
	s_and_b64 vcc, s[0:1], vcc
	v_cndmask_b32_e64 v23, 0, v22, s[0:1]
	v_cndmask_b32_e32 v22, 0, v14, vcc
	s_and_b64 vcc, s[4:5], s[2:3]
	v_mul_f64 v[22:23], v[22:23], v[2:3]
	s_waitcnt vmcnt(1)
	v_cmp_ngt_f64_e64 s[0:1], s[24:25], v[12:13]
	v_fma_f64 v[18:19], v[16:17], s[10:11], v[18:19]
	v_cvt_i32_f64_e32 v17, v[16:17]
	v_mul_f64 v[15:16], v[12:13], s[8:9]
	v_cvt_f32_f64_e32 v22, v[22:23]
	v_mov_b32_e32 v23, s15
	v_fma_f64 v[20:21], v[18:19], s[18:19], v[4:5]
	v_rndne_f64_e32 v[15:16], v[15:16]
	v_fma_f64 v[20:21], v[18:19], v[20:21], s[20:21]
	v_cvt_i32_f64_e32 v14, v[15:16]
	v_fma_f64 v[20:21], v[18:19], v[20:21], s[26:27]
	v_fma_f64 v[20:21], v[18:19], v[20:21], s[28:29]
	;; [unrolled: 1-line block ×7, first 2 shown]
	v_fma_f64 v[20:21], v[18:19], v[20:21], 1.0
	v_fma_f64 v[18:19], v[18:19], v[20:21], 1.0
	v_ldexp_f64 v[17:18], v[18:19], v17
	v_cndmask_b32_e64 v26, v25, v18, s[2:3]
	v_fma_f64 v[18:19], v[15:16], s[12:13], v[12:13]
	v_cmp_eq_u32_e64 s[2:3], 44, v0
	v_fma_f64 v[18:19], v[15:16], s[10:11], v[18:19]
	v_fma_f64 v[20:21], v[18:19], s[18:19], v[4:5]
	;; [unrolled: 1-line block ×10, first 2 shown]
	v_fma_f64 v[20:21], v[18:19], v[20:21], 1.0
	v_fma_f64 v[18:19], v[18:19], v[20:21], 1.0
	v_cndmask_b32_e32 v20, 0, v17, vcc
	v_cndmask_b32_e64 v21, 0, v26, s[4:5]
	v_mul_f64 v[20:21], v[20:21], v[2:3]
	v_ldexp_f64 v[18:19], v[18:19], v14
	v_add_u32_e32 v14, 0x64324, v1
	v_ashrrev_i32_e32 v15, 31, v14
	v_lshlrev_b64 v[16:17], 3, v[14:15]
	v_mov_b32_e32 v15, s17
	v_add_co_u32_e32 v14, vcc, s16, v16
	v_addc_co_u32_e32 v15, vcc, v15, v17, vcc
	global_load_dwordx2 v[14:15], v[14:15], off
	v_cmp_nlt_f64_e32 vcc, s[22:23], v[12:13]
	v_sub_f32_e32 v12, v24, v22
	v_cndmask_b32_e64 v12, -v22, v12, s[2:3]
	v_cvt_f64_f32_e32 v[12:13], v12
	v_cvt_f32_f64_e32 v20, v[20:21]
	v_cndmask_b32_e32 v19, v25, v19, vcc
	s_and_b64 vcc, s[0:1], vcc
	v_cndmask_b32_e64 v19, 0, v19, s[0:1]
	v_cndmask_b32_e32 v18, 0, v18, vcc
	v_mul_f64 v[18:19], v[18:19], v[2:3]
	v_add_co_u32_e32 v6, vcc, s14, v6
	v_addc_co_u32_e32 v7, vcc, v23, v7, vcc
	global_store_dwordx2 v[6:7], v[12:13], off
	v_sub_f32_e32 v6, v24, v20
	v_cmp_eq_u32_e32 vcc, 45, v0
	v_cndmask_b32_e64 v6, -v20, v6, vcc
	v_cvt_f32_f64_e32 v13, v[18:19]
	v_cvt_f64_f32_e32 v[6:7], v6
	v_mov_b32_e32 v12, s15
	v_add_co_u32_e32 v8, vcc, s14, v8
	v_addc_co_u32_e32 v9, vcc, v12, v9, vcc
	global_store_dwordx2 v[8:9], v[6:7], off
	v_sub_f32_e32 v6, v24, v13
	v_cmp_eq_u32_e32 vcc, 46, v0
	v_cndmask_b32_e64 v6, -v13, v6, vcc
	v_cvt_f64_f32_e32 v[6:7], v6
	v_mov_b32_e32 v9, s15
	v_add_co_u32_e32 v8, vcc, s14, v10
	v_addc_co_u32_e32 v9, vcc, v9, v11, vcc
	global_store_dwordx2 v[8:9], v[6:7], off
	v_mov_b32_e32 v6, s15
	v_add_co_u32_e32 v16, vcc, s14, v16
	v_addc_co_u32_e32 v17, vcc, v6, v17, vcc
	v_add_u32_e32 v6, 0x66540, v1
	v_ashrrev_i32_e32 v7, 31, v6
	v_lshlrev_b64 v[6:7], 3, v[6:7]
	v_mov_b32_e32 v8, s17
	v_add_co_u32_e32 v18, vcc, s16, v6
	v_addc_co_u32_e32 v19, vcc, v8, v7, vcc
	v_add_u32_e32 v8, 0x6875c, v1
	v_ashrrev_i32_e32 v9, 31, v8
	v_lshlrev_b64 v[8:9], 3, v[8:9]
	v_mov_b32_e32 v10, s17
	v_add_co_u32_e32 v20, vcc, s16, v8
	v_addc_co_u32_e32 v21, vcc, v10, v9, vcc
	v_add_u32_e32 v10, 0x6a978, v1
	v_ashrrev_i32_e32 v11, 31, v10
	v_lshlrev_b64 v[10:11], 3, v[10:11]
	v_mov_b32_e32 v12, s17
	v_add_co_u32_e32 v22, vcc, s16, v10
	v_addc_co_u32_e32 v23, vcc, v12, v11, vcc
	global_load_dwordx2 v[26:27], v[18:19], off
	global_load_dwordx2 v[28:29], v[20:21], off
	global_load_dwordx2 v[12:13], v[22:23], off
	s_waitcnt vmcnt(6)
	v_mul_f64 v[18:19], v[14:15], s[8:9]
	v_cmp_nlt_f64_e32 vcc, s[22:23], v[14:15]
	v_cmp_ngt_f64_e64 s[0:1], s[24:25], v[14:15]
	v_rndne_f64_e32 v[18:19], v[18:19]
	v_fma_f64 v[20:21], v[18:19], s[12:13], v[14:15]
	v_fma_f64 v[20:21], v[18:19], s[10:11], v[20:21]
	v_cvt_i32_f64_e32 v18, v[18:19]
	v_fma_f64 v[22:23], v[20:21], s[18:19], v[4:5]
	v_fma_f64 v[22:23], v[20:21], v[22:23], s[20:21]
	;; [unrolled: 1-line block ×5, first 2 shown]
	s_waitcnt vmcnt(1)
	v_cmp_nlt_f64_e64 s[2:3], s[22:23], v[28:29]
	v_cmp_ngt_f64_e64 s[4:5], s[24:25], v[28:29]
	v_fma_f64 v[22:23], v[20:21], v[22:23], s[34:35]
	v_fma_f64 v[22:23], v[20:21], v[22:23], s[36:37]
	;; [unrolled: 1-line block ×4, first 2 shown]
	v_fma_f64 v[22:23], v[20:21], v[22:23], 1.0
	v_fma_f64 v[20:21], v[20:21], v[22:23], 1.0
	v_ldexp_f64 v[18:19], v[20:21], v18
	v_cndmask_b32_e32 v19, v25, v19, vcc
	s_and_b64 vcc, s[0:1], vcc
	v_cndmask_b32_e64 v15, 0, v19, s[0:1]
	v_cndmask_b32_e32 v14, 0, v18, vcc
	v_mul_f64 v[14:15], v[14:15], v[2:3]
	v_mul_f64 v[18:19], v[26:27], s[8:9]
	v_cmp_eq_u32_e32 vcc, 47, v0
	v_cmp_ngt_f64_e64 s[0:1], s[24:25], v[26:27]
	v_cvt_f32_f64_e32 v20, v[14:15]
	v_rndne_f64_e32 v[14:15], v[18:19]
	v_sub_f32_e32 v21, v24, v20
	v_cndmask_b32_e64 v18, -v20, v21, vcc
	v_cvt_f64_f32_e32 v[18:19], v18
	v_cmp_nlt_f64_e32 vcc, s[22:23], v[26:27]
	global_store_dwordx2 v[16:17], v[18:19], off
	v_fma_f64 v[16:17], v[14:15], s[12:13], v[26:27]
	v_fma_f64 v[16:17], v[14:15], s[10:11], v[16:17]
	v_cvt_i32_f64_e32 v14, v[14:15]
	v_fma_f64 v[18:19], v[16:17], s[18:19], v[4:5]
	v_fma_f64 v[18:19], v[16:17], v[18:19], s[20:21]
	;; [unrolled: 1-line block ×9, first 2 shown]
	v_fma_f64 v[18:19], v[16:17], v[18:19], 1.0
	v_fma_f64 v[16:17], v[16:17], v[18:19], 1.0
	v_mul_f64 v[18:19], v[28:29], s[8:9]
	v_ldexp_f64 v[14:15], v[16:17], v14
	v_rndne_f64_e32 v[16:17], v[18:19]
	v_cndmask_b32_e32 v22, v25, v15, vcc
	v_fma_f64 v[18:19], v[16:17], s[12:13], v[28:29]
	s_and_b64 vcc, s[0:1], vcc
	v_cndmask_b32_e64 v23, 0, v22, s[0:1]
	v_cndmask_b32_e32 v22, 0, v14, vcc
	s_and_b64 vcc, s[4:5], s[2:3]
	v_mul_f64 v[22:23], v[22:23], v[2:3]
	s_waitcnt vmcnt(1)
	v_cmp_ngt_f64_e64 s[0:1], s[24:25], v[12:13]
	v_fma_f64 v[18:19], v[16:17], s[10:11], v[18:19]
	v_cvt_i32_f64_e32 v17, v[16:17]
	v_mul_f64 v[15:16], v[12:13], s[8:9]
	v_cvt_f32_f64_e32 v22, v[22:23]
	v_mov_b32_e32 v23, s15
	v_fma_f64 v[20:21], v[18:19], s[18:19], v[4:5]
	v_rndne_f64_e32 v[15:16], v[15:16]
	v_fma_f64 v[20:21], v[18:19], v[20:21], s[20:21]
	v_cvt_i32_f64_e32 v14, v[15:16]
	v_fma_f64 v[20:21], v[18:19], v[20:21], s[26:27]
	v_fma_f64 v[20:21], v[18:19], v[20:21], s[28:29]
	;; [unrolled: 1-line block ×7, first 2 shown]
	v_fma_f64 v[20:21], v[18:19], v[20:21], 1.0
	v_fma_f64 v[18:19], v[18:19], v[20:21], 1.0
	v_ldexp_f64 v[17:18], v[18:19], v17
	v_cndmask_b32_e64 v26, v25, v18, s[2:3]
	v_fma_f64 v[18:19], v[15:16], s[12:13], v[12:13]
	v_cmp_eq_u32_e64 s[2:3], 48, v0
	v_fma_f64 v[18:19], v[15:16], s[10:11], v[18:19]
	v_fma_f64 v[20:21], v[18:19], s[18:19], v[4:5]
	;; [unrolled: 1-line block ×10, first 2 shown]
	v_fma_f64 v[20:21], v[18:19], v[20:21], 1.0
	v_fma_f64 v[18:19], v[18:19], v[20:21], 1.0
	v_cndmask_b32_e32 v20, 0, v17, vcc
	v_cndmask_b32_e64 v21, 0, v26, s[4:5]
	v_mul_f64 v[20:21], v[20:21], v[2:3]
	v_ldexp_f64 v[18:19], v[18:19], v14
	v_add_u32_e32 v14, 0x6cb94, v1
	v_ashrrev_i32_e32 v15, 31, v14
	v_lshlrev_b64 v[16:17], 3, v[14:15]
	v_mov_b32_e32 v15, s17
	v_add_co_u32_e32 v14, vcc, s16, v16
	v_addc_co_u32_e32 v15, vcc, v15, v17, vcc
	global_load_dwordx2 v[14:15], v[14:15], off
	v_cmp_nlt_f64_e32 vcc, s[22:23], v[12:13]
	v_sub_f32_e32 v12, v24, v22
	v_cndmask_b32_e64 v12, -v22, v12, s[2:3]
	v_cvt_f64_f32_e32 v[12:13], v12
	v_cvt_f32_f64_e32 v20, v[20:21]
	v_cndmask_b32_e32 v19, v25, v19, vcc
	s_and_b64 vcc, s[0:1], vcc
	v_cndmask_b32_e64 v19, 0, v19, s[0:1]
	v_cndmask_b32_e32 v18, 0, v18, vcc
	v_mul_f64 v[18:19], v[18:19], v[2:3]
	v_add_co_u32_e32 v6, vcc, s14, v6
	v_addc_co_u32_e32 v7, vcc, v23, v7, vcc
	global_store_dwordx2 v[6:7], v[12:13], off
	v_sub_f32_e32 v6, v24, v20
	v_cmp_eq_u32_e32 vcc, 49, v0
	v_cndmask_b32_e64 v6, -v20, v6, vcc
	v_cvt_f32_f64_e32 v13, v[18:19]
	v_cvt_f64_f32_e32 v[6:7], v6
	v_mov_b32_e32 v12, s15
	v_add_co_u32_e32 v8, vcc, s14, v8
	v_addc_co_u32_e32 v9, vcc, v12, v9, vcc
	global_store_dwordx2 v[8:9], v[6:7], off
	v_sub_f32_e32 v6, v24, v13
	v_cmp_eq_u32_e32 vcc, 50, v0
	v_cndmask_b32_e64 v6, -v13, v6, vcc
	v_cvt_f64_f32_e32 v[6:7], v6
	v_mov_b32_e32 v9, s15
	v_add_co_u32_e32 v8, vcc, s14, v10
	v_addc_co_u32_e32 v9, vcc, v9, v11, vcc
	global_store_dwordx2 v[8:9], v[6:7], off
	v_mov_b32_e32 v6, s15
	v_add_co_u32_e32 v16, vcc, s14, v16
	v_addc_co_u32_e32 v17, vcc, v6, v17, vcc
	v_add_u32_e32 v6, 0x6edb0, v1
	v_ashrrev_i32_e32 v7, 31, v6
	v_lshlrev_b64 v[6:7], 3, v[6:7]
	v_mov_b32_e32 v8, s17
	v_add_co_u32_e32 v18, vcc, s16, v6
	v_addc_co_u32_e32 v19, vcc, v8, v7, vcc
	v_add_u32_e32 v8, 0x70fcc, v1
	v_ashrrev_i32_e32 v9, 31, v8
	v_lshlrev_b64 v[8:9], 3, v[8:9]
	;; [unrolled: 6-line block ×3, first 2 shown]
	v_mov_b32_e32 v12, s17
	v_add_co_u32_e32 v22, vcc, s16, v10
	v_addc_co_u32_e32 v23, vcc, v12, v11, vcc
	global_load_dwordx2 v[26:27], v[18:19], off
	global_load_dwordx2 v[28:29], v[20:21], off
	;; [unrolled: 1-line block ×3, first 2 shown]
	s_waitcnt vmcnt(6)
	v_mul_f64 v[18:19], v[14:15], s[8:9]
	v_cmp_nlt_f64_e32 vcc, s[22:23], v[14:15]
	v_cmp_ngt_f64_e64 s[0:1], s[24:25], v[14:15]
	v_rndne_f64_e32 v[18:19], v[18:19]
	v_fma_f64 v[20:21], v[18:19], s[12:13], v[14:15]
	v_fma_f64 v[20:21], v[18:19], s[10:11], v[20:21]
	v_cvt_i32_f64_e32 v18, v[18:19]
	v_fma_f64 v[22:23], v[20:21], s[18:19], v[4:5]
	v_fma_f64 v[22:23], v[20:21], v[22:23], s[20:21]
	;; [unrolled: 1-line block ×5, first 2 shown]
	s_waitcnt vmcnt(1)
	v_cmp_nlt_f64_e64 s[2:3], s[22:23], v[28:29]
	v_cmp_ngt_f64_e64 s[4:5], s[24:25], v[28:29]
	v_fma_f64 v[22:23], v[20:21], v[22:23], s[34:35]
	v_fma_f64 v[22:23], v[20:21], v[22:23], s[36:37]
	;; [unrolled: 1-line block ×4, first 2 shown]
	v_fma_f64 v[22:23], v[20:21], v[22:23], 1.0
	v_fma_f64 v[20:21], v[20:21], v[22:23], 1.0
	v_ldexp_f64 v[18:19], v[20:21], v18
	v_cndmask_b32_e32 v19, v25, v19, vcc
	s_and_b64 vcc, s[0:1], vcc
	v_cndmask_b32_e64 v15, 0, v19, s[0:1]
	v_cndmask_b32_e32 v14, 0, v18, vcc
	v_mul_f64 v[14:15], v[14:15], v[2:3]
	v_mul_f64 v[18:19], v[26:27], s[8:9]
	v_cmp_eq_u32_e32 vcc, 51, v0
	v_cmp_ngt_f64_e64 s[0:1], s[24:25], v[26:27]
	v_cvt_f32_f64_e32 v20, v[14:15]
	v_rndne_f64_e32 v[14:15], v[18:19]
	v_sub_f32_e32 v21, v24, v20
	v_cndmask_b32_e64 v18, -v20, v21, vcc
	v_cvt_f64_f32_e32 v[18:19], v18
	v_cmp_nlt_f64_e32 vcc, s[22:23], v[26:27]
	global_store_dwordx2 v[16:17], v[18:19], off
	v_fma_f64 v[16:17], v[14:15], s[12:13], v[26:27]
	v_fma_f64 v[16:17], v[14:15], s[10:11], v[16:17]
	v_cvt_i32_f64_e32 v14, v[14:15]
	v_fma_f64 v[18:19], v[16:17], s[18:19], v[4:5]
	v_fma_f64 v[18:19], v[16:17], v[18:19], s[20:21]
	v_fma_f64 v[18:19], v[16:17], v[18:19], s[26:27]
	v_fma_f64 v[18:19], v[16:17], v[18:19], s[28:29]
	v_fma_f64 v[18:19], v[16:17], v[18:19], s[30:31]
	v_fma_f64 v[18:19], v[16:17], v[18:19], s[34:35]
	v_fma_f64 v[18:19], v[16:17], v[18:19], s[36:37]
	v_fma_f64 v[18:19], v[16:17], v[18:19], s[38:39]
	v_fma_f64 v[18:19], v[16:17], v[18:19], s[40:41]
	v_fma_f64 v[18:19], v[16:17], v[18:19], 1.0
	v_fma_f64 v[16:17], v[16:17], v[18:19], 1.0
	v_mul_f64 v[18:19], v[28:29], s[8:9]
	v_ldexp_f64 v[14:15], v[16:17], v14
	v_rndne_f64_e32 v[16:17], v[18:19]
	v_cndmask_b32_e32 v22, v25, v15, vcc
	v_fma_f64 v[18:19], v[16:17], s[12:13], v[28:29]
	s_and_b64 vcc, s[0:1], vcc
	v_cndmask_b32_e64 v23, 0, v22, s[0:1]
	v_cndmask_b32_e32 v22, 0, v14, vcc
	s_and_b64 vcc, s[4:5], s[2:3]
	v_mul_f64 v[22:23], v[22:23], v[2:3]
	s_waitcnt vmcnt(1)
	v_cmp_ngt_f64_e64 s[0:1], s[24:25], v[12:13]
	v_fma_f64 v[18:19], v[16:17], s[10:11], v[18:19]
	v_cvt_i32_f64_e32 v17, v[16:17]
	v_mul_f64 v[15:16], v[12:13], s[8:9]
	v_cvt_f32_f64_e32 v22, v[22:23]
	v_mov_b32_e32 v23, s15
	v_fma_f64 v[20:21], v[18:19], s[18:19], v[4:5]
	v_rndne_f64_e32 v[15:16], v[15:16]
	v_fma_f64 v[20:21], v[18:19], v[20:21], s[20:21]
	v_cvt_i32_f64_e32 v14, v[15:16]
	v_fma_f64 v[20:21], v[18:19], v[20:21], s[26:27]
	v_fma_f64 v[20:21], v[18:19], v[20:21], s[28:29]
	;; [unrolled: 1-line block ×7, first 2 shown]
	v_fma_f64 v[20:21], v[18:19], v[20:21], 1.0
	v_fma_f64 v[18:19], v[18:19], v[20:21], 1.0
	v_ldexp_f64 v[17:18], v[18:19], v17
	v_cndmask_b32_e64 v26, v25, v18, s[2:3]
	v_fma_f64 v[18:19], v[15:16], s[12:13], v[12:13]
	v_cmp_eq_u32_e64 s[2:3], 52, v0
	v_fma_f64 v[18:19], v[15:16], s[10:11], v[18:19]
	v_fma_f64 v[20:21], v[18:19], s[18:19], v[4:5]
	;; [unrolled: 1-line block ×10, first 2 shown]
	v_fma_f64 v[20:21], v[18:19], v[20:21], 1.0
	v_fma_f64 v[18:19], v[18:19], v[20:21], 1.0
	v_cndmask_b32_e32 v20, 0, v17, vcc
	v_cndmask_b32_e64 v21, 0, v26, s[4:5]
	v_mul_f64 v[20:21], v[20:21], v[2:3]
	v_ldexp_f64 v[18:19], v[18:19], v14
	v_add_u32_e32 v14, 0x75404, v1
	v_ashrrev_i32_e32 v15, 31, v14
	v_lshlrev_b64 v[16:17], 3, v[14:15]
	v_mov_b32_e32 v15, s17
	v_add_co_u32_e32 v14, vcc, s16, v16
	v_addc_co_u32_e32 v15, vcc, v15, v17, vcc
	global_load_dwordx2 v[14:15], v[14:15], off
	v_cmp_nlt_f64_e32 vcc, s[22:23], v[12:13]
	v_sub_f32_e32 v12, v24, v22
	v_cndmask_b32_e64 v12, -v22, v12, s[2:3]
	v_cvt_f64_f32_e32 v[12:13], v12
	v_cvt_f32_f64_e32 v20, v[20:21]
	v_cndmask_b32_e32 v19, v25, v19, vcc
	s_and_b64 vcc, s[0:1], vcc
	v_cndmask_b32_e64 v19, 0, v19, s[0:1]
	v_cndmask_b32_e32 v18, 0, v18, vcc
	v_mul_f64 v[18:19], v[18:19], v[2:3]
	v_add_co_u32_e32 v6, vcc, s14, v6
	v_addc_co_u32_e32 v7, vcc, v23, v7, vcc
	global_store_dwordx2 v[6:7], v[12:13], off
	v_sub_f32_e32 v6, v24, v20
	v_cmp_eq_u32_e32 vcc, 53, v0
	v_cndmask_b32_e64 v6, -v20, v6, vcc
	v_cvt_f32_f64_e32 v13, v[18:19]
	v_cvt_f64_f32_e32 v[6:7], v6
	v_mov_b32_e32 v12, s15
	v_add_co_u32_e32 v8, vcc, s14, v8
	v_addc_co_u32_e32 v9, vcc, v12, v9, vcc
	global_store_dwordx2 v[8:9], v[6:7], off
	v_sub_f32_e32 v6, v24, v13
	v_cmp_eq_u32_e32 vcc, 54, v0
	v_cndmask_b32_e64 v6, -v13, v6, vcc
	v_cvt_f64_f32_e32 v[6:7], v6
	v_mov_b32_e32 v9, s15
	v_add_co_u32_e32 v8, vcc, s14, v10
	v_addc_co_u32_e32 v9, vcc, v9, v11, vcc
	global_store_dwordx2 v[8:9], v[6:7], off
	v_mov_b32_e32 v6, s15
	v_add_co_u32_e32 v16, vcc, s14, v16
	v_addc_co_u32_e32 v17, vcc, v6, v17, vcc
	v_add_u32_e32 v6, 0x77620, v1
	v_ashrrev_i32_e32 v7, 31, v6
	v_lshlrev_b64 v[6:7], 3, v[6:7]
	v_mov_b32_e32 v8, s17
	v_add_co_u32_e32 v18, vcc, s16, v6
	v_addc_co_u32_e32 v19, vcc, v8, v7, vcc
	v_add_u32_e32 v8, 0x7983c, v1
	v_ashrrev_i32_e32 v9, 31, v8
	v_lshlrev_b64 v[8:9], 3, v[8:9]
	;; [unrolled: 6-line block ×3, first 2 shown]
	v_mov_b32_e32 v12, s17
	v_add_co_u32_e32 v22, vcc, s16, v10
	v_addc_co_u32_e32 v23, vcc, v12, v11, vcc
	global_load_dwordx2 v[26:27], v[18:19], off
	global_load_dwordx2 v[28:29], v[20:21], off
	;; [unrolled: 1-line block ×3, first 2 shown]
	s_waitcnt vmcnt(6)
	v_mul_f64 v[18:19], v[14:15], s[8:9]
	v_cmp_nlt_f64_e32 vcc, s[22:23], v[14:15]
	v_cmp_ngt_f64_e64 s[0:1], s[24:25], v[14:15]
	v_rndne_f64_e32 v[18:19], v[18:19]
	v_fma_f64 v[20:21], v[18:19], s[12:13], v[14:15]
	v_fma_f64 v[20:21], v[18:19], s[10:11], v[20:21]
	v_cvt_i32_f64_e32 v18, v[18:19]
	v_fma_f64 v[22:23], v[20:21], s[18:19], v[4:5]
	v_fma_f64 v[22:23], v[20:21], v[22:23], s[20:21]
	;; [unrolled: 1-line block ×5, first 2 shown]
	s_waitcnt vmcnt(1)
	v_cmp_nlt_f64_e64 s[2:3], s[22:23], v[28:29]
	v_cmp_ngt_f64_e64 s[4:5], s[24:25], v[28:29]
	v_fma_f64 v[22:23], v[20:21], v[22:23], s[34:35]
	v_fma_f64 v[22:23], v[20:21], v[22:23], s[36:37]
	;; [unrolled: 1-line block ×4, first 2 shown]
	v_fma_f64 v[22:23], v[20:21], v[22:23], 1.0
	v_fma_f64 v[20:21], v[20:21], v[22:23], 1.0
	v_ldexp_f64 v[18:19], v[20:21], v18
	v_cndmask_b32_e32 v19, v25, v19, vcc
	s_and_b64 vcc, s[0:1], vcc
	v_cndmask_b32_e64 v15, 0, v19, s[0:1]
	v_cndmask_b32_e32 v14, 0, v18, vcc
	v_mul_f64 v[14:15], v[14:15], v[2:3]
	v_mul_f64 v[18:19], v[26:27], s[8:9]
	v_cmp_eq_u32_e32 vcc, 55, v0
	v_cmp_ngt_f64_e64 s[0:1], s[24:25], v[26:27]
	v_cvt_f32_f64_e32 v20, v[14:15]
	v_rndne_f64_e32 v[14:15], v[18:19]
	v_sub_f32_e32 v21, v24, v20
	v_cndmask_b32_e64 v18, -v20, v21, vcc
	v_cvt_f64_f32_e32 v[18:19], v18
	v_cmp_nlt_f64_e32 vcc, s[22:23], v[26:27]
	global_store_dwordx2 v[16:17], v[18:19], off
	v_fma_f64 v[16:17], v[14:15], s[12:13], v[26:27]
	v_fma_f64 v[16:17], v[14:15], s[10:11], v[16:17]
	v_cvt_i32_f64_e32 v14, v[14:15]
	v_fma_f64 v[18:19], v[16:17], s[18:19], v[4:5]
	v_fma_f64 v[18:19], v[16:17], v[18:19], s[20:21]
	;; [unrolled: 1-line block ×9, first 2 shown]
	v_fma_f64 v[18:19], v[16:17], v[18:19], 1.0
	v_fma_f64 v[16:17], v[16:17], v[18:19], 1.0
	v_mul_f64 v[18:19], v[28:29], s[8:9]
	v_ldexp_f64 v[14:15], v[16:17], v14
	v_rndne_f64_e32 v[16:17], v[18:19]
	v_cndmask_b32_e32 v22, v25, v15, vcc
	v_fma_f64 v[18:19], v[16:17], s[12:13], v[28:29]
	s_and_b64 vcc, s[0:1], vcc
	v_cndmask_b32_e64 v23, 0, v22, s[0:1]
	v_cndmask_b32_e32 v22, 0, v14, vcc
	s_and_b64 vcc, s[4:5], s[2:3]
	v_mul_f64 v[22:23], v[22:23], v[2:3]
	s_waitcnt vmcnt(1)
	v_cmp_ngt_f64_e64 s[0:1], s[24:25], v[12:13]
	v_fma_f64 v[18:19], v[16:17], s[10:11], v[18:19]
	v_cvt_i32_f64_e32 v17, v[16:17]
	v_mul_f64 v[15:16], v[12:13], s[8:9]
	v_cvt_f32_f64_e32 v22, v[22:23]
	v_mov_b32_e32 v23, s15
	v_fma_f64 v[20:21], v[18:19], s[18:19], v[4:5]
	v_rndne_f64_e32 v[15:16], v[15:16]
	v_fma_f64 v[20:21], v[18:19], v[20:21], s[20:21]
	v_cvt_i32_f64_e32 v14, v[15:16]
	v_fma_f64 v[20:21], v[18:19], v[20:21], s[26:27]
	v_fma_f64 v[20:21], v[18:19], v[20:21], s[28:29]
	;; [unrolled: 1-line block ×7, first 2 shown]
	v_fma_f64 v[20:21], v[18:19], v[20:21], 1.0
	v_fma_f64 v[18:19], v[18:19], v[20:21], 1.0
	v_ldexp_f64 v[17:18], v[18:19], v17
	v_cndmask_b32_e64 v26, v25, v18, s[2:3]
	v_fma_f64 v[18:19], v[15:16], s[12:13], v[12:13]
	v_cmp_eq_u32_e64 s[2:3], 56, v0
	v_fma_f64 v[18:19], v[15:16], s[10:11], v[18:19]
	v_fma_f64 v[20:21], v[18:19], s[18:19], v[4:5]
	;; [unrolled: 1-line block ×10, first 2 shown]
	v_fma_f64 v[20:21], v[18:19], v[20:21], 1.0
	v_fma_f64 v[18:19], v[18:19], v[20:21], 1.0
	v_cndmask_b32_e32 v20, 0, v17, vcc
	v_cndmask_b32_e64 v21, 0, v26, s[4:5]
	v_mul_f64 v[20:21], v[20:21], v[2:3]
	v_ldexp_f64 v[18:19], v[18:19], v14
	v_add_u32_e32 v14, 0x7dc74, v1
	v_ashrrev_i32_e32 v15, 31, v14
	v_lshlrev_b64 v[16:17], 3, v[14:15]
	v_mov_b32_e32 v15, s17
	v_add_co_u32_e32 v14, vcc, s16, v16
	v_addc_co_u32_e32 v15, vcc, v15, v17, vcc
	global_load_dwordx2 v[14:15], v[14:15], off
	v_cmp_nlt_f64_e32 vcc, s[22:23], v[12:13]
	v_sub_f32_e32 v12, v24, v22
	v_cndmask_b32_e64 v12, -v22, v12, s[2:3]
	v_cvt_f64_f32_e32 v[12:13], v12
	v_cvt_f32_f64_e32 v20, v[20:21]
	v_cndmask_b32_e32 v19, v25, v19, vcc
	s_and_b64 vcc, s[0:1], vcc
	v_cndmask_b32_e64 v19, 0, v19, s[0:1]
	v_cndmask_b32_e32 v18, 0, v18, vcc
	v_mul_f64 v[18:19], v[18:19], v[2:3]
	v_add_co_u32_e32 v6, vcc, s14, v6
	v_addc_co_u32_e32 v7, vcc, v23, v7, vcc
	global_store_dwordx2 v[6:7], v[12:13], off
	v_sub_f32_e32 v6, v24, v20
	v_cmp_eq_u32_e32 vcc, 57, v0
	v_cndmask_b32_e64 v6, -v20, v6, vcc
	v_cvt_f32_f64_e32 v13, v[18:19]
	v_cvt_f64_f32_e32 v[6:7], v6
	v_mov_b32_e32 v12, s15
	v_add_co_u32_e32 v8, vcc, s14, v8
	v_addc_co_u32_e32 v9, vcc, v12, v9, vcc
	global_store_dwordx2 v[8:9], v[6:7], off
	v_sub_f32_e32 v6, v24, v13
	v_cmp_eq_u32_e32 vcc, 58, v0
	v_cndmask_b32_e64 v6, -v13, v6, vcc
	v_cvt_f64_f32_e32 v[6:7], v6
	v_mov_b32_e32 v9, s15
	v_add_co_u32_e32 v8, vcc, s14, v10
	v_addc_co_u32_e32 v9, vcc, v9, v11, vcc
	global_store_dwordx2 v[8:9], v[6:7], off
	v_mov_b32_e32 v6, s15
	v_add_co_u32_e32 v16, vcc, s14, v16
	v_addc_co_u32_e32 v17, vcc, v6, v17, vcc
	v_add_u32_e32 v6, 0x7fe90, v1
	v_ashrrev_i32_e32 v7, 31, v6
	v_lshlrev_b64 v[6:7], 3, v[6:7]
	v_mov_b32_e32 v8, s17
	v_add_co_u32_e32 v18, vcc, s16, v6
	v_addc_co_u32_e32 v19, vcc, v8, v7, vcc
	v_add_u32_e32 v8, 0x820ac, v1
	v_ashrrev_i32_e32 v9, 31, v8
	v_lshlrev_b64 v[8:9], 3, v[8:9]
	;; [unrolled: 6-line block ×3, first 2 shown]
	v_mov_b32_e32 v12, s17
	v_add_co_u32_e32 v22, vcc, s16, v10
	v_addc_co_u32_e32 v23, vcc, v12, v11, vcc
	global_load_dwordx2 v[26:27], v[18:19], off
	global_load_dwordx2 v[28:29], v[20:21], off
	;; [unrolled: 1-line block ×3, first 2 shown]
	s_waitcnt vmcnt(6)
	v_mul_f64 v[18:19], v[14:15], s[8:9]
	v_cmp_nlt_f64_e32 vcc, s[22:23], v[14:15]
	v_cmp_ngt_f64_e64 s[0:1], s[24:25], v[14:15]
	v_rndne_f64_e32 v[18:19], v[18:19]
	v_fma_f64 v[20:21], v[18:19], s[12:13], v[14:15]
	v_fma_f64 v[20:21], v[18:19], s[10:11], v[20:21]
	v_cvt_i32_f64_e32 v18, v[18:19]
	v_fma_f64 v[22:23], v[20:21], s[18:19], v[4:5]
	v_fma_f64 v[22:23], v[20:21], v[22:23], s[20:21]
	;; [unrolled: 1-line block ×5, first 2 shown]
	s_waitcnt vmcnt(1)
	v_cmp_nlt_f64_e64 s[2:3], s[22:23], v[28:29]
	v_cmp_ngt_f64_e64 s[4:5], s[24:25], v[28:29]
	v_fma_f64 v[22:23], v[20:21], v[22:23], s[34:35]
	v_fma_f64 v[22:23], v[20:21], v[22:23], s[36:37]
	;; [unrolled: 1-line block ×4, first 2 shown]
	v_fma_f64 v[22:23], v[20:21], v[22:23], 1.0
	v_fma_f64 v[20:21], v[20:21], v[22:23], 1.0
	v_ldexp_f64 v[18:19], v[20:21], v18
	v_cndmask_b32_e32 v19, v25, v19, vcc
	s_and_b64 vcc, s[0:1], vcc
	v_cndmask_b32_e64 v15, 0, v19, s[0:1]
	v_cndmask_b32_e32 v14, 0, v18, vcc
	v_mul_f64 v[14:15], v[14:15], v[2:3]
	v_mul_f64 v[18:19], v[26:27], s[8:9]
	v_cmp_eq_u32_e32 vcc, 59, v0
	v_cmp_ngt_f64_e64 s[0:1], s[24:25], v[26:27]
	v_cvt_f32_f64_e32 v20, v[14:15]
	v_rndne_f64_e32 v[14:15], v[18:19]
	v_sub_f32_e32 v21, v24, v20
	v_cndmask_b32_e64 v18, -v20, v21, vcc
	v_cvt_f64_f32_e32 v[18:19], v18
	v_cmp_nlt_f64_e32 vcc, s[22:23], v[26:27]
	global_store_dwordx2 v[16:17], v[18:19], off
	v_fma_f64 v[16:17], v[14:15], s[12:13], v[26:27]
	v_fma_f64 v[16:17], v[14:15], s[10:11], v[16:17]
	v_cvt_i32_f64_e32 v14, v[14:15]
	v_fma_f64 v[18:19], v[16:17], s[18:19], v[4:5]
	v_fma_f64 v[18:19], v[16:17], v[18:19], s[20:21]
	;; [unrolled: 1-line block ×9, first 2 shown]
	v_fma_f64 v[18:19], v[16:17], v[18:19], 1.0
	v_fma_f64 v[16:17], v[16:17], v[18:19], 1.0
	v_mul_f64 v[18:19], v[28:29], s[8:9]
	v_ldexp_f64 v[14:15], v[16:17], v14
	v_rndne_f64_e32 v[16:17], v[18:19]
	v_cndmask_b32_e32 v22, v25, v15, vcc
	v_fma_f64 v[18:19], v[16:17], s[12:13], v[28:29]
	s_and_b64 vcc, s[0:1], vcc
	v_cndmask_b32_e64 v23, 0, v22, s[0:1]
	v_cndmask_b32_e32 v22, 0, v14, vcc
	s_and_b64 vcc, s[4:5], s[2:3]
	v_mul_f64 v[22:23], v[22:23], v[2:3]
	s_waitcnt vmcnt(1)
	v_cmp_ngt_f64_e64 s[0:1], s[24:25], v[12:13]
	v_fma_f64 v[18:19], v[16:17], s[10:11], v[18:19]
	v_cvt_i32_f64_e32 v17, v[16:17]
	v_mul_f64 v[15:16], v[12:13], s[8:9]
	v_cvt_f32_f64_e32 v22, v[22:23]
	v_mov_b32_e32 v23, s15
	v_fma_f64 v[20:21], v[18:19], s[18:19], v[4:5]
	v_rndne_f64_e32 v[15:16], v[15:16]
	v_fma_f64 v[20:21], v[18:19], v[20:21], s[20:21]
	v_cvt_i32_f64_e32 v14, v[15:16]
	v_fma_f64 v[20:21], v[18:19], v[20:21], s[26:27]
	v_fma_f64 v[20:21], v[18:19], v[20:21], s[28:29]
	;; [unrolled: 1-line block ×7, first 2 shown]
	v_fma_f64 v[20:21], v[18:19], v[20:21], 1.0
	v_fma_f64 v[18:19], v[18:19], v[20:21], 1.0
	v_ldexp_f64 v[17:18], v[18:19], v17
	v_cndmask_b32_e64 v26, v25, v18, s[2:3]
	v_fma_f64 v[18:19], v[15:16], s[12:13], v[12:13]
	v_cmp_eq_u32_e64 s[2:3], 60, v0
	v_fma_f64 v[18:19], v[15:16], s[10:11], v[18:19]
	v_fma_f64 v[20:21], v[18:19], s[18:19], v[4:5]
	;; [unrolled: 1-line block ×10, first 2 shown]
	v_fma_f64 v[20:21], v[18:19], v[20:21], 1.0
	v_fma_f64 v[18:19], v[18:19], v[20:21], 1.0
	v_cndmask_b32_e32 v20, 0, v17, vcc
	v_cndmask_b32_e64 v21, 0, v26, s[4:5]
	v_mul_f64 v[20:21], v[20:21], v[2:3]
	v_ldexp_f64 v[18:19], v[18:19], v14
	v_add_u32_e32 v14, 0x864e4, v1
	v_ashrrev_i32_e32 v15, 31, v14
	v_lshlrev_b64 v[16:17], 3, v[14:15]
	v_mov_b32_e32 v15, s17
	v_add_co_u32_e32 v14, vcc, s16, v16
	v_addc_co_u32_e32 v15, vcc, v15, v17, vcc
	global_load_dwordx2 v[14:15], v[14:15], off
	v_cmp_nlt_f64_e32 vcc, s[22:23], v[12:13]
	v_sub_f32_e32 v12, v24, v22
	v_cndmask_b32_e64 v12, -v22, v12, s[2:3]
	v_cvt_f64_f32_e32 v[12:13], v12
	v_cvt_f32_f64_e32 v20, v[20:21]
	v_mov_b32_e32 v21, s17
	v_cndmask_b32_e32 v19, v25, v19, vcc
	s_and_b64 vcc, s[0:1], vcc
	v_cndmask_b32_e64 v19, 0, v19, s[0:1]
	v_cndmask_b32_e32 v18, 0, v18, vcc
	v_mul_f64 v[18:19], v[18:19], v[2:3]
	v_add_co_u32_e32 v6, vcc, s14, v6
	v_addc_co_u32_e32 v7, vcc, v23, v7, vcc
	global_store_dwordx2 v[6:7], v[12:13], off
	v_sub_f32_e32 v6, v24, v20
	v_cmp_eq_u32_e32 vcc, 61, v0
	v_cndmask_b32_e64 v6, -v20, v6, vcc
	v_cvt_f32_f64_e32 v13, v[18:19]
	v_cvt_f64_f32_e32 v[6:7], v6
	v_mov_b32_e32 v12, s15
	v_add_co_u32_e32 v8, vcc, s14, v8
	v_addc_co_u32_e32 v9, vcc, v12, v9, vcc
	global_store_dwordx2 v[8:9], v[6:7], off
	v_sub_f32_e32 v6, v24, v13
	v_cmp_eq_u32_e32 vcc, 62, v0
	v_cndmask_b32_e64 v6, -v13, v6, vcc
	v_cvt_f64_f32_e32 v[6:7], v6
	v_mov_b32_e32 v9, s15
	v_add_co_u32_e32 v8, vcc, s14, v10
	v_addc_co_u32_e32 v9, vcc, v9, v11, vcc
	global_store_dwordx2 v[8:9], v[6:7], off
	v_mov_b32_e32 v6, s15
	v_add_co_u32_e32 v12, vcc, s14, v16
	v_addc_co_u32_e32 v13, vcc, v6, v17, vcc
	v_add_u32_e32 v6, 0x88700, v1
	v_ashrrev_i32_e32 v7, 31, v6
	v_lshlrev_b64 v[10:11], 3, v[6:7]
	v_mov_b32_e32 v6, s17
	v_add_co_u32_e32 v16, vcc, s16, v10
	v_addc_co_u32_e32 v17, vcc, v6, v11, vcc
	v_add_u32_e32 v6, 0x8a91c, v1
	v_ashrrev_i32_e32 v7, 31, v6
	v_lshlrev_b64 v[6:7], 3, v[6:7]
	;; [unrolled: 6-line block ×3, first 2 shown]
	v_add_co_u32_e64 v10, s[2:3], s14, v10
	v_add_co_u32_e32 v20, vcc, s16, v8
	v_addc_co_u32_e32 v21, vcc, v21, v9, vcc
	global_load_dwordx2 v[22:23], v[16:17], off
	global_load_dwordx2 v[26:27], v[18:19], off
	;; [unrolled: 1-line block ×3, first 2 shown]
	s_waitcnt vmcnt(6)
	v_mul_f64 v[16:17], v[14:15], s[8:9]
	v_cmp_nlt_f64_e32 vcc, s[22:23], v[14:15]
	v_cmp_ngt_f64_e64 s[0:1], s[24:25], v[14:15]
	v_rndne_f64_e32 v[16:17], v[16:17]
	v_fma_f64 v[18:19], v[16:17], s[12:13], v[14:15]
	v_fma_f64 v[18:19], v[16:17], s[10:11], v[18:19]
	v_cvt_i32_f64_e32 v16, v[16:17]
	v_fma_f64 v[20:21], v[18:19], s[18:19], v[4:5]
	v_fma_f64 v[20:21], v[18:19], v[20:21], s[20:21]
	;; [unrolled: 1-line block ×5, first 2 shown]
	s_waitcnt vmcnt(1)
	v_cmp_ngt_f64_e64 s[4:5], s[24:25], v[26:27]
	v_fma_f64 v[20:21], v[18:19], v[20:21], s[34:35]
	v_fma_f64 v[20:21], v[18:19], v[20:21], s[36:37]
	;; [unrolled: 1-line block ×4, first 2 shown]
	v_fma_f64 v[20:21], v[18:19], v[20:21], 1.0
	v_fma_f64 v[18:19], v[18:19], v[20:21], 1.0
	v_ldexp_f64 v[16:17], v[18:19], v16
	v_cndmask_b32_e32 v17, v25, v17, vcc
	s_and_b64 vcc, s[0:1], vcc
	v_cndmask_b32_e64 v15, 0, v17, s[0:1]
	v_cndmask_b32_e32 v14, 0, v16, vcc
	v_mul_f64 v[14:15], v[14:15], v[2:3]
	v_mul_f64 v[16:17], v[22:23], s[8:9]
	v_cmp_eq_u32_e32 vcc, 63, v0
	v_cmp_ngt_f64_e64 s[0:1], s[24:25], v[22:23]
	v_cvt_f32_f64_e32 v18, v[14:15]
	v_rndne_f64_e32 v[14:15], v[16:17]
	v_sub_f32_e32 v19, v24, v18
	v_cndmask_b32_e64 v16, -v18, v19, vcc
	v_cvt_f64_f32_e32 v[16:17], v16
	v_cmp_nlt_f64_e32 vcc, s[22:23], v[22:23]
	global_store_dwordx2 v[12:13], v[16:17], off
	v_fma_f64 v[12:13], v[14:15], s[12:13], v[22:23]
	v_fma_f64 v[12:13], v[14:15], s[10:11], v[12:13]
	v_fma_f64 v[16:17], v[12:13], s[18:19], v[4:5]
	v_fma_f64 v[16:17], v[12:13], v[16:17], s[20:21]
	v_fma_f64 v[16:17], v[12:13], v[16:17], s[26:27]
	v_fma_f64 v[16:17], v[12:13], v[16:17], s[28:29]
	v_fma_f64 v[16:17], v[12:13], v[16:17], s[30:31]
	v_fma_f64 v[16:17], v[12:13], v[16:17], s[34:35]
	v_fma_f64 v[16:17], v[12:13], v[16:17], s[36:37]
	v_fma_f64 v[16:17], v[12:13], v[16:17], s[38:39]
	v_fma_f64 v[16:17], v[12:13], v[16:17], s[40:41]
	v_fma_f64 v[16:17], v[12:13], v[16:17], 1.0
	v_fma_f64 v[12:13], v[12:13], v[16:17], 1.0
	v_cvt_i32_f64_e32 v16, v[14:15]
	v_mul_f64 v[14:15], v[26:27], s[8:9]
	v_ldexp_f64 v[12:13], v[12:13], v16
	v_mov_b32_e32 v16, s15
	v_rndne_f64_e32 v[14:15], v[14:15]
	v_addc_co_u32_e64 v11, s[2:3], v16, v11, s[2:3]
	s_waitcnt vmcnt(1)
	v_cmp_ngt_f64_e64 s[2:3], s[24:25], v[28:29]
	v_cndmask_b32_e32 v13, v25, v13, vcc
	s_and_b64 vcc, s[0:1], vcc
	v_fma_f64 v[16:17], v[14:15], s[12:13], v[26:27]
	v_fma_f64 v[16:17], v[14:15], s[10:11], v[16:17]
	v_cvt_i32_f64_e32 v14, v[14:15]
	v_fma_f64 v[18:19], v[16:17], s[18:19], v[4:5]
	v_fma_f64 v[18:19], v[16:17], v[18:19], s[20:21]
	;; [unrolled: 1-line block ×9, first 2 shown]
	v_fma_f64 v[18:19], v[16:17], v[18:19], 1.0
	v_fma_f64 v[16:17], v[16:17], v[18:19], 1.0
	v_mul_f64 v[18:19], v[28:29], s[8:9]
	v_rndne_f64_e32 v[18:19], v[18:19]
	v_fma_f64 v[20:21], v[18:19], s[12:13], v[28:29]
	v_cvt_i32_f64_e32 v15, v[18:19]
	v_fma_f64 v[20:21], v[18:19], s[10:11], v[20:21]
	v_ldexp_f64 v[18:19], v[16:17], v14
	v_fma_f64 v[22:23], v[20:21], s[18:19], v[4:5]
	v_fma_f64 v[22:23], v[20:21], v[22:23], s[20:21]
	;; [unrolled: 1-line block ×9, first 2 shown]
	v_fma_f64 v[22:23], v[20:21], v[22:23], 1.0
	v_fma_f64 v[20:21], v[20:21], v[22:23], 1.0
	v_ldexp_f64 v[16:17], v[20:21], v15
	v_cndmask_b32_e32 v20, 0, v12, vcc
	v_add_u32_e32 v12, 0x8ed54, v1
	v_cndmask_b32_e64 v21, 0, v13, s[0:1]
	v_ashrrev_i32_e32 v13, 31, v12
	v_lshlrev_b64 v[14:15], 3, v[12:13]
	v_mov_b32_e32 v13, s17
	v_add_co_u32_e64 v12, s[6:7], s16, v14
	v_addc_co_u32_e64 v13, s[6:7], v13, v15, s[6:7]
	global_load_dwordx2 v[12:13], v[12:13], off
	v_cmp_nlt_f64_e64 s[0:1], s[22:23], v[26:27]
	v_mul_f64 v[20:21], v[20:21], v[2:3]
	v_cmp_nlt_f64_e32 vcc, s[22:23], v[28:29]
	v_cndmask_b32_e64 v19, v25, v19, s[0:1]
	s_and_b64 s[0:1], s[4:5], s[0:1]
	v_cndmask_b32_e64 v19, 0, v19, s[4:5]
	v_cndmask_b32_e64 v18, 0, v18, s[0:1]
	v_mul_f64 v[18:19], v[18:19], v[2:3]
	v_cvt_f32_f64_e32 v20, v[20:21]
	v_cndmask_b32_e32 v17, v25, v17, vcc
	s_and_b64 vcc, s[2:3], vcc
	v_cndmask_b32_e64 v17, 0, v17, s[2:3]
	v_cndmask_b32_e32 v16, 0, v16, vcc
	v_sub_f32_e32 v21, v24, v20
	v_cmp_eq_u32_e64 s[0:1], 64, v0
	v_mul_f64 v[16:17], v[16:17], v[2:3]
	v_cndmask_b32_e64 v20, -v20, v21, s[0:1]
	v_cvt_f64_f32_e32 v[20:21], v20
	v_cvt_f32_f64_e32 v18, v[18:19]
	s_movk_i32 s0, 0x41
	v_cmp_eq_u32_e32 vcc, s0, v0
	global_store_dwordx2 v[10:11], v[20:21], off
	v_sub_f32_e32 v10, v24, v18
	v_cndmask_b32_e64 v10, -v18, v10, vcc
	v_cvt_f32_f64_e32 v16, v[16:17]
	v_cvt_f64_f32_e32 v[10:11], v10
	v_mov_b32_e32 v19, s15
	v_add_co_u32_e32 v6, vcc, s14, v6
	v_addc_co_u32_e32 v7, vcc, v19, v7, vcc
	s_movk_i32 s0, 0x42
	global_store_dwordx2 v[6:7], v[10:11], off
	v_sub_f32_e32 v6, v24, v16
	v_cmp_eq_u32_e32 vcc, s0, v0
	v_cndmask_b32_e64 v6, -v16, v6, vcc
	v_cvt_f64_f32_e32 v[6:7], v6
	v_mov_b32_e32 v10, s15
	v_add_co_u32_e32 v8, vcc, s14, v8
	v_addc_co_u32_e32 v9, vcc, v10, v9, vcc
	global_store_dwordx2 v[8:9], v[6:7], off
	v_mov_b32_e32 v6, s15
	v_add_co_u32_e32 v14, vcc, s14, v14
	v_addc_co_u32_e32 v15, vcc, v6, v15, vcc
	v_add_u32_e32 v6, 0x90f70, v1
	v_ashrrev_i32_e32 v7, 31, v6
	v_lshlrev_b64 v[10:11], 3, v[6:7]
	v_mov_b32_e32 v6, s17
	v_add_co_u32_e32 v16, vcc, s16, v10
	v_addc_co_u32_e32 v17, vcc, v6, v11, vcc
	v_add_u32_e32 v6, 0x9318c, v1
	v_ashrrev_i32_e32 v7, 31, v6
	v_lshlrev_b64 v[6:7], 3, v[6:7]
	v_mov_b32_e32 v8, s17
	v_add_co_u32_e32 v18, vcc, s16, v6
	v_addc_co_u32_e32 v19, vcc, v8, v7, vcc
	v_add_u32_e32 v8, 0x953a8, v1
	v_ashrrev_i32_e32 v9, 31, v8
	v_lshlrev_b64 v[8:9], 3, v[8:9]
	v_mov_b32_e32 v21, s17
	v_add_co_u32_e32 v20, vcc, s16, v8
	v_addc_co_u32_e32 v21, vcc, v21, v9, vcc
	global_load_dwordx2 v[22:23], v[16:17], off
	global_load_dwordx2 v[26:27], v[18:19], off
	;; [unrolled: 1-line block ×3, first 2 shown]
	v_add_co_u32_e64 v10, s[2:3], s14, v10
	s_waitcnt vmcnt(6)
	v_mul_f64 v[16:17], v[12:13], s[8:9]
	v_cmp_nlt_f64_e32 vcc, s[22:23], v[12:13]
	v_cmp_ngt_f64_e64 s[0:1], s[24:25], v[12:13]
	v_rndne_f64_e32 v[16:17], v[16:17]
	v_fma_f64 v[18:19], v[16:17], s[12:13], v[12:13]
	v_fma_f64 v[18:19], v[16:17], s[10:11], v[18:19]
	v_cvt_i32_f64_e32 v16, v[16:17]
	v_fma_f64 v[20:21], v[18:19], s[18:19], v[4:5]
	v_fma_f64 v[20:21], v[18:19], v[20:21], s[20:21]
	;; [unrolled: 1-line block ×6, first 2 shown]
	s_waitcnt vmcnt(1)
	v_cmp_ngt_f64_e64 s[4:5], s[24:25], v[26:27]
	v_fma_f64 v[20:21], v[18:19], v[20:21], s[36:37]
	v_fma_f64 v[20:21], v[18:19], v[20:21], s[38:39]
	;; [unrolled: 1-line block ×3, first 2 shown]
	v_fma_f64 v[20:21], v[18:19], v[20:21], 1.0
	v_fma_f64 v[18:19], v[18:19], v[20:21], 1.0
	v_ldexp_f64 v[16:17], v[18:19], v16
	v_cndmask_b32_e32 v17, v25, v17, vcc
	s_and_b64 vcc, s[0:1], vcc
	v_cndmask_b32_e64 v13, 0, v17, s[0:1]
	v_cndmask_b32_e32 v12, 0, v16, vcc
	v_mul_f64 v[12:13], v[12:13], v[2:3]
	v_mul_f64 v[16:17], v[22:23], s[8:9]
	s_movk_i32 s0, 0x43
	v_cmp_eq_u32_e32 vcc, s0, v0
	v_cmp_ngt_f64_e64 s[0:1], s[24:25], v[22:23]
	v_cvt_f32_f64_e32 v18, v[12:13]
	v_rndne_f64_e32 v[12:13], v[16:17]
	v_sub_f32_e32 v19, v24, v18
	v_cndmask_b32_e64 v16, -v18, v19, vcc
	v_cvt_f64_f32_e32 v[16:17], v16
	v_cmp_nlt_f64_e32 vcc, s[22:23], v[22:23]
	global_store_dwordx2 v[14:15], v[16:17], off
	v_fma_f64 v[14:15], v[12:13], s[12:13], v[22:23]
	v_fma_f64 v[14:15], v[12:13], s[10:11], v[14:15]
	v_fma_f64 v[16:17], v[14:15], s[18:19], v[4:5]
	v_fma_f64 v[16:17], v[14:15], v[16:17], s[20:21]
	v_fma_f64 v[16:17], v[14:15], v[16:17], s[26:27]
	v_fma_f64 v[16:17], v[14:15], v[16:17], s[28:29]
	v_fma_f64 v[16:17], v[14:15], v[16:17], s[30:31]
	v_fma_f64 v[16:17], v[14:15], v[16:17], s[34:35]
	v_fma_f64 v[16:17], v[14:15], v[16:17], s[36:37]
	v_fma_f64 v[16:17], v[14:15], v[16:17], s[38:39]
	v_fma_f64 v[16:17], v[14:15], v[16:17], s[40:41]
	v_fma_f64 v[16:17], v[14:15], v[16:17], 1.0
	v_fma_f64 v[14:15], v[14:15], v[16:17], 1.0
	v_cvt_i32_f64_e32 v16, v[12:13]
	v_mul_f64 v[12:13], v[26:27], s[8:9]
	v_ldexp_f64 v[14:15], v[14:15], v16
	v_rndne_f64_e32 v[12:13], v[12:13]
	v_cndmask_b32_e32 v30, v25, v15, vcc
	v_mov_b32_e32 v15, s15
	v_addc_co_u32_e64 v11, s[2:3], v15, v11, s[2:3]
	v_fma_f64 v[15:16], v[12:13], s[12:13], v[26:27]
	s_and_b64 vcc, s[0:1], vcc
	s_waitcnt vmcnt(1)
	v_cmp_ngt_f64_e64 s[2:3], s[24:25], v[28:29]
	v_fma_f64 v[15:16], v[12:13], s[10:11], v[15:16]
	v_cvt_i32_f64_e32 v12, v[12:13]
	v_fma_f64 v[17:18], v[15:16], s[18:19], v[4:5]
	v_fma_f64 v[17:18], v[15:16], v[17:18], s[20:21]
	;; [unrolled: 1-line block ×9, first 2 shown]
	v_fma_f64 v[17:18], v[15:16], v[17:18], 1.0
	v_fma_f64 v[15:16], v[15:16], v[17:18], 1.0
	v_mul_f64 v[17:18], v[28:29], s[8:9]
	v_rndne_f64_e32 v[17:18], v[17:18]
	v_fma_f64 v[19:20], v[17:18], s[12:13], v[28:29]
	v_cvt_i32_f64_e32 v13, v[17:18]
	v_fma_f64 v[19:20], v[17:18], s[10:11], v[19:20]
	v_fma_f64 v[21:22], v[19:20], s[18:19], v[4:5]
	;; [unrolled: 1-line block ×10, first 2 shown]
	v_fma_f64 v[21:22], v[19:20], v[21:22], 1.0
	v_fma_f64 v[20:21], v[19:20], v[21:22], 1.0
	v_ldexp_f64 v[18:19], v[15:16], v12
	v_add_u32_e32 v12, 0x975c4, v1
	v_ldexp_f64 v[16:17], v[20:21], v13
	v_ashrrev_i32_e32 v13, 31, v12
	v_cndmask_b32_e32 v20, 0, v14, vcc
	v_lshlrev_b64 v[14:15], 3, v[12:13]
	v_mov_b32_e32 v13, s17
	v_add_co_u32_e64 v12, s[6:7], s16, v14
	v_addc_co_u32_e64 v13, s[6:7], v13, v15, s[6:7]
	global_load_dwordx2 v[12:13], v[12:13], off
	v_cndmask_b32_e64 v21, 0, v30, s[0:1]
	v_cmp_nlt_f64_e64 s[0:1], s[22:23], v[26:27]
	v_mul_f64 v[20:21], v[20:21], v[2:3]
	v_cmp_nlt_f64_e32 vcc, s[22:23], v[28:29]
	s_movk_i32 s6, 0x44
	v_cndmask_b32_e64 v19, v25, v19, s[0:1]
	s_and_b64 s[0:1], s[4:5], s[0:1]
	v_cndmask_b32_e64 v19, 0, v19, s[4:5]
	v_cndmask_b32_e64 v18, 0, v18, s[0:1]
	v_mul_f64 v[18:19], v[18:19], v[2:3]
	v_cvt_f32_f64_e32 v20, v[20:21]
	v_cndmask_b32_e32 v17, v25, v17, vcc
	s_and_b64 vcc, s[2:3], vcc
	v_cndmask_b32_e64 v17, 0, v17, s[2:3]
	v_cndmask_b32_e32 v16, 0, v16, vcc
	v_sub_f32_e32 v21, v24, v20
	v_cmp_eq_u32_e64 s[0:1], s6, v0
	v_mul_f64 v[16:17], v[16:17], v[2:3]
	v_cndmask_b32_e64 v20, -v20, v21, s[0:1]
	v_cvt_f64_f32_e32 v[20:21], v20
	v_cvt_f32_f64_e32 v18, v[18:19]
	s_movk_i32 s0, 0x45
	v_cmp_eq_u32_e32 vcc, s0, v0
	global_store_dwordx2 v[10:11], v[20:21], off
	v_sub_f32_e32 v10, v24, v18
	v_cndmask_b32_e64 v10, -v18, v10, vcc
	v_cvt_f32_f64_e32 v16, v[16:17]
	v_cvt_f64_f32_e32 v[10:11], v10
	v_mov_b32_e32 v19, s15
	v_add_co_u32_e32 v6, vcc, s14, v6
	v_addc_co_u32_e32 v7, vcc, v19, v7, vcc
	s_movk_i32 s0, 0x46
	global_store_dwordx2 v[6:7], v[10:11], off
	v_sub_f32_e32 v6, v24, v16
	v_cmp_eq_u32_e32 vcc, s0, v0
	v_cndmask_b32_e64 v6, -v16, v6, vcc
	v_cvt_f64_f32_e32 v[6:7], v6
	v_mov_b32_e32 v10, s15
	v_add_co_u32_e32 v8, vcc, s14, v8
	v_addc_co_u32_e32 v9, vcc, v10, v9, vcc
	global_store_dwordx2 v[8:9], v[6:7], off
	v_mov_b32_e32 v6, s15
	v_add_co_u32_e32 v14, vcc, s14, v14
	v_addc_co_u32_e32 v15, vcc, v6, v15, vcc
	v_add_u32_e32 v6, 0x997e0, v1
	v_ashrrev_i32_e32 v7, 31, v6
	v_lshlrev_b64 v[10:11], 3, v[6:7]
	v_mov_b32_e32 v6, s17
	v_add_co_u32_e32 v16, vcc, s16, v10
	v_addc_co_u32_e32 v17, vcc, v6, v11, vcc
	v_add_u32_e32 v6, 0x9b9fc, v1
	v_ashrrev_i32_e32 v7, 31, v6
	v_lshlrev_b64 v[6:7], 3, v[6:7]
	;; [unrolled: 6-line block ×3, first 2 shown]
	v_mov_b32_e32 v21, s17
	v_add_co_u32_e32 v20, vcc, s16, v8
	v_addc_co_u32_e32 v21, vcc, v21, v9, vcc
	global_load_dwordx2 v[22:23], v[16:17], off
	global_load_dwordx2 v[26:27], v[18:19], off
	;; [unrolled: 1-line block ×3, first 2 shown]
	s_waitcnt vmcnt(6)
	v_mul_f64 v[16:17], v[12:13], s[8:9]
	v_cmp_nlt_f64_e32 vcc, s[22:23], v[12:13]
	v_cmp_ngt_f64_e64 s[0:1], s[24:25], v[12:13]
	v_add_co_u32_e64 v10, s[2:3], s14, v10
	v_rndne_f64_e32 v[16:17], v[16:17]
	v_fma_f64 v[18:19], v[16:17], s[12:13], v[12:13]
	v_fma_f64 v[18:19], v[16:17], s[10:11], v[18:19]
	v_cvt_i32_f64_e32 v16, v[16:17]
	v_fma_f64 v[20:21], v[18:19], s[18:19], v[4:5]
	v_fma_f64 v[20:21], v[18:19], v[20:21], s[20:21]
	;; [unrolled: 1-line block ×6, first 2 shown]
	s_waitcnt vmcnt(1)
	v_cmp_ngt_f64_e64 s[4:5], s[24:25], v[26:27]
	v_fma_f64 v[20:21], v[18:19], v[20:21], s[36:37]
	v_fma_f64 v[20:21], v[18:19], v[20:21], s[38:39]
	;; [unrolled: 1-line block ×3, first 2 shown]
	v_fma_f64 v[20:21], v[18:19], v[20:21], 1.0
	v_fma_f64 v[18:19], v[18:19], v[20:21], 1.0
	v_ldexp_f64 v[16:17], v[18:19], v16
	v_cndmask_b32_e32 v17, v25, v17, vcc
	s_and_b64 vcc, s[0:1], vcc
	v_cndmask_b32_e64 v13, 0, v17, s[0:1]
	v_cndmask_b32_e32 v12, 0, v16, vcc
	v_mul_f64 v[12:13], v[12:13], v[2:3]
	v_mul_f64 v[16:17], v[22:23], s[8:9]
	s_movk_i32 s0, 0x47
	v_cmp_eq_u32_e32 vcc, s0, v0
	v_cmp_ngt_f64_e64 s[0:1], s[24:25], v[22:23]
	v_cvt_f32_f64_e32 v18, v[12:13]
	v_rndne_f64_e32 v[12:13], v[16:17]
	v_sub_f32_e32 v19, v24, v18
	v_cndmask_b32_e64 v16, -v18, v19, vcc
	v_cvt_f64_f32_e32 v[16:17], v16
	v_cmp_nlt_f64_e32 vcc, s[22:23], v[22:23]
	global_store_dwordx2 v[14:15], v[16:17], off
	v_fma_f64 v[14:15], v[12:13], s[12:13], v[22:23]
	v_fma_f64 v[14:15], v[12:13], s[10:11], v[14:15]
	;; [unrolled: 1-line block ×11, first 2 shown]
	v_fma_f64 v[16:17], v[14:15], v[16:17], 1.0
	v_fma_f64 v[14:15], v[14:15], v[16:17], 1.0
	v_cvt_i32_f64_e32 v16, v[12:13]
	v_mul_f64 v[12:13], v[26:27], s[8:9]
	v_ldexp_f64 v[18:19], v[14:15], v16
	v_mov_b32_e32 v14, s15
	v_rndne_f64_e32 v[12:13], v[12:13]
	v_addc_co_u32_e64 v11, s[2:3], v14, v11, s[2:3]
	s_waitcnt vmcnt(1)
	v_cmp_ngt_f64_e64 s[2:3], s[24:25], v[28:29]
	v_cndmask_b32_e32 v30, v25, v19, vcc
	s_and_b64 vcc, s[0:1], vcc
	v_fma_f64 v[14:15], v[12:13], s[12:13], v[26:27]
	v_fma_f64 v[14:15], v[12:13], s[10:11], v[14:15]
	v_cvt_i32_f64_e32 v12, v[12:13]
	v_fma_f64 v[16:17], v[14:15], s[18:19], v[4:5]
	v_fma_f64 v[16:17], v[14:15], v[16:17], s[20:21]
	;; [unrolled: 1-line block ×9, first 2 shown]
	v_fma_f64 v[16:17], v[14:15], v[16:17], 1.0
	v_fma_f64 v[14:15], v[14:15], v[16:17], 1.0
	v_mul_f64 v[16:17], v[28:29], s[8:9]
	v_rndne_f64_e32 v[16:17], v[16:17]
	v_fma_f64 v[19:20], v[16:17], s[12:13], v[28:29]
	v_cvt_i32_f64_e32 v13, v[16:17]
	v_fma_f64 v[19:20], v[16:17], s[10:11], v[19:20]
	v_ldexp_f64 v[16:17], v[14:15], v12
	v_add_u32_e32 v12, 0x9fe34, v1
	v_fma_f64 v[21:22], v[19:20], s[18:19], v[4:5]
	v_fma_f64 v[21:22], v[19:20], v[21:22], s[20:21]
	;; [unrolled: 1-line block ×9, first 2 shown]
	v_fma_f64 v[21:22], v[19:20], v[21:22], 1.0
	v_fma_f64 v[19:20], v[19:20], v[21:22], 1.0
	v_ldexp_f64 v[14:15], v[19:20], v13
	v_cndmask_b32_e64 v20, 0, v30, s[0:1]
	v_cmp_nlt_f64_e64 s[0:1], s[22:23], v[26:27]
	v_ashrrev_i32_e32 v13, 31, v12
	v_lshlrev_b64 v[12:13], 3, v[12:13]
	v_cndmask_b32_e32 v19, 0, v18, vcc
	v_mov_b32_e32 v18, s17
	v_mul_f64 v[19:20], v[19:20], v[2:3]
	v_cmp_nlt_f64_e32 vcc, s[22:23], v[28:29]
	v_cndmask_b32_e64 v21, v25, v17, s[0:1]
	v_add_co_u32_e64 v17, s[6:7], s16, v12
	v_addc_co_u32_e64 v18, s[6:7], v18, v13, s[6:7]
	global_load_dwordx2 v[17:18], v[17:18], off
	s_and_b64 s[0:1], s[4:5], s[0:1]
	v_cvt_f32_f64_e32 v22, v[19:20]
	v_cndmask_b32_e64 v20, 0, v21, s[4:5]
	v_cndmask_b32_e64 v19, 0, v16, s[0:1]
	v_mul_f64 v[19:20], v[19:20], v[2:3]
	v_cndmask_b32_e32 v15, v25, v15, vcc
	s_and_b64 vcc, s[2:3], vcc
	s_movk_i32 s6, 0x48
	v_cndmask_b32_e64 v15, 0, v15, s[2:3]
	v_cndmask_b32_e32 v14, 0, v14, vcc
	v_sub_f32_e32 v16, v24, v22
	v_cmp_eq_u32_e64 s[0:1], s6, v0
	v_mul_f64 v[14:15], v[14:15], v[2:3]
	v_cndmask_b32_e64 v16, -v22, v16, s[0:1]
	v_cvt_f64_f32_e32 v[21:22], v16
	v_cvt_f32_f64_e32 v16, v[19:20]
	s_movk_i32 s0, 0x49
	v_cmp_eq_u32_e32 vcc, s0, v0
	global_store_dwordx2 v[10:11], v[21:22], off
	v_sub_f32_e32 v10, v24, v16
	v_cndmask_b32_e64 v10, -v16, v10, vcc
	v_cvt_f32_f64_e32 v14, v[14:15]
	v_cvt_f64_f32_e32 v[10:11], v10
	v_mov_b32_e32 v19, s15
	v_add_co_u32_e32 v6, vcc, s14, v6
	v_addc_co_u32_e32 v7, vcc, v19, v7, vcc
	s_movk_i32 s0, 0x4a
	global_store_dwordx2 v[6:7], v[10:11], off
	v_sub_f32_e32 v6, v24, v14
	v_cmp_eq_u32_e32 vcc, s0, v0
	v_cndmask_b32_e64 v6, -v14, v6, vcc
	v_cvt_f64_f32_e32 v[6:7], v6
	v_mov_b32_e32 v10, s15
	v_add_co_u32_e32 v8, vcc, s14, v8
	v_addc_co_u32_e32 v9, vcc, v10, v9, vcc
	global_store_dwordx2 v[8:9], v[6:7], off
	v_mov_b32_e32 v6, s15
	v_add_co_u32_e32 v19, vcc, s14, v12
	v_addc_co_u32_e32 v20, vcc, v6, v13, vcc
	v_add_u32_e32 v6, 0xa2050, v1
	v_ashrrev_i32_e32 v7, 31, v6
	v_lshlrev_b64 v[14:15], 3, v[6:7]
	v_mov_b32_e32 v6, s17
	v_add_co_u32_e32 v21, vcc, s16, v14
	v_addc_co_u32_e32 v22, vcc, v6, v15, vcc
	v_add_u32_e32 v6, 0xa426c, v1
	v_ashrrev_i32_e32 v7, 31, v6
	v_lshlrev_b64 v[10:11], 3, v[6:7]
	;; [unrolled: 6-line block ×3, first 2 shown]
	v_mov_b32_e32 v8, s17
	v_add_co_u32_e32 v28, vcc, s16, v6
	v_addc_co_u32_e32 v29, vcc, v8, v7, vcc
	global_load_dwordx2 v[30:31], v[21:22], off
	global_load_dwordx2 v[12:13], v[26:27], off
	;; [unrolled: 1-line block ×3, first 2 shown]
	v_add_co_u32_e64 v14, s[2:3], s14, v14
	s_waitcnt vmcnt(6)
	v_mul_f64 v[21:22], v[17:18], s[8:9]
	v_cmp_nlt_f64_e32 vcc, s[22:23], v[17:18]
	v_cmp_ngt_f64_e64 s[0:1], s[24:25], v[17:18]
	v_rndne_f64_e32 v[21:22], v[21:22]
	v_fma_f64 v[26:27], v[21:22], s[12:13], v[17:18]
	v_cvt_i32_f64_e32 v16, v[21:22]
	v_fma_f64 v[26:27], v[21:22], s[10:11], v[26:27]
	v_fma_f64 v[28:29], v[26:27], s[18:19], v[4:5]
	;; [unrolled: 1-line block ×10, first 2 shown]
	v_fma_f64 v[28:29], v[26:27], v[28:29], 1.0
	v_fma_f64 v[26:27], v[26:27], v[28:29], 1.0
	v_ldexp_f64 v[21:22], v[26:27], v16
	v_cndmask_b32_e32 v16, v25, v22, vcc
	s_and_b64 vcc, s[0:1], vcc
	v_cndmask_b32_e64 v17, 0, v16, s[0:1]
	v_cndmask_b32_e32 v16, 0, v21, vcc
	v_mul_f64 v[16:17], v[16:17], v[2:3]
	s_waitcnt vmcnt(2)
	v_mul_f64 v[21:22], v[30:31], s[8:9]
	s_movk_i32 s0, 0x4b
	v_cmp_eq_u32_e32 vcc, s0, v0
	v_cmp_ngt_f64_e64 s[0:1], s[24:25], v[30:31]
	v_cvt_f32_f64_e32 v18, v[16:17]
	v_rndne_f64_e32 v[16:17], v[21:22]
	v_sub_f32_e32 v23, v24, v18
	v_cndmask_b32_e64 v18, -v18, v23, vcc
	v_cvt_f64_f32_e32 v[21:22], v18
	v_cmp_nlt_f64_e32 vcc, s[22:23], v[30:31]
	global_store_dwordx2 v[19:20], v[21:22], off
	v_fma_f64 v[18:19], v[16:17], s[12:13], v[30:31]
	v_fma_f64 v[18:19], v[16:17], s[10:11], v[18:19]
	;; [unrolled: 1-line block ×11, first 2 shown]
	v_fma_f64 v[20:21], v[18:19], v[20:21], 1.0
	v_fma_f64 v[18:19], v[18:19], v[20:21], 1.0
	v_cvt_i32_f64_e32 v20, v[16:17]
	s_waitcnt vmcnt(2)
	v_mul_f64 v[16:17], v[12:13], s[8:9]
	v_ldexp_f64 v[18:19], v[18:19], v20
	v_rndne_f64_e32 v[16:17], v[16:17]
	v_cndmask_b32_e32 v21, v25, v19, vcc
	v_mov_b32_e32 v19, s15
	v_addc_co_u32_e64 v15, s[2:3], v19, v15, s[2:3]
	v_fma_f64 v[19:20], v[16:17], s[12:13], v[12:13]
	s_and_b64 vcc, s[0:1], vcc
	v_cndmask_b32_e32 v18, 0, v18, vcc
	v_fma_f64 v[22:23], v[16:17], s[10:11], v[19:20]
	v_cndmask_b32_e64 v19, 0, v21, s[0:1]
	s_movk_i32 s0, 0x4c
	v_cmp_eq_u32_e32 vcc, s0, v0
	v_cmp_ngt_f64_e64 s[0:1], s[24:25], v[12:13]
	v_fma_f64 v[20:21], v[22:23], s[18:19], v[4:5]
	v_fma_f64 v[20:21], v[22:23], v[20:21], s[20:21]
	;; [unrolled: 1-line block ×9, first 2 shown]
	v_fma_f64 v[26:27], v[22:23], v[20:21], 1.0
	v_mul_f64 v[20:21], v[18:19], v[2:3]
	v_fma_f64 v[18:19], v[22:23], v[26:27], 1.0
	s_waitcnt vmcnt(1)
	v_mul_f64 v[22:23], v[8:9], s[8:9]
	v_cvt_f32_f64_e32 v20, v[20:21]
	v_cvt_i32_f64_e32 v26, v[16:17]
	v_sub_f32_e32 v21, v24, v20
	v_cndmask_b32_e64 v20, -v20, v21, vcc
	v_ldexp_f64 v[18:19], v[18:19], v26
	v_rndne_f64_e32 v[16:17], v[22:23]
	v_cmp_nlt_f64_e32 vcc, s[22:23], v[12:13]
	v_cvt_f64_f32_e32 v[20:21], v20
	v_mov_b32_e32 v13, s15
	v_add_co_u32_e64 v12, s[2:3], s14, v10
	v_add_u32_e32 v10, 0xa86a4, v1
	v_addc_co_u32_e64 v13, s[2:3], v13, v11, s[2:3]
	v_ashrrev_i32_e32 v11, 31, v10
	v_lshlrev_b64 v[10:11], 3, v[10:11]
	global_store_dwordx2 v[14:15], v[20:21], off
	v_fma_f64 v[14:15], v[16:17], s[12:13], v[8:9]
	v_cndmask_b32_e32 v21, v25, v19, vcc
	v_mov_b32_e32 v20, s17
	v_add_co_u32_e64 v19, s[2:3], s16, v10
	v_addc_co_u32_e64 v20, s[2:3], v20, v11, s[2:3]
	global_load_dwordx2 v[19:20], v[19:20], off
	v_fma_f64 v[14:15], v[16:17], s[10:11], v[14:15]
	s_and_b64 vcc, s[0:1], vcc
	v_cndmask_b32_e64 v22, 0, v21, s[0:1]
	v_cndmask_b32_e32 v21, 0, v18, vcc
	v_mul_f64 v[21:22], v[21:22], v[2:3]
	s_movk_i32 s0, 0x4d
	v_cmp_eq_u32_e32 vcc, s0, v0
	v_cmp_ngt_f64_e64 s[0:1], s[24:25], v[8:9]
	v_fma_f64 v[26:27], v[14:15], s[18:19], v[4:5]
	v_cvt_f32_f64_e32 v18, v[21:22]
	v_fma_f64 v[26:27], v[14:15], v[26:27], s[20:21]
	v_sub_f32_e32 v23, v24, v18
	v_cndmask_b32_e64 v18, -v18, v23, vcc
	v_fma_f64 v[26:27], v[14:15], v[26:27], s[26:27]
	v_fma_f64 v[26:27], v[14:15], v[26:27], s[28:29]
	;; [unrolled: 1-line block ×6, first 2 shown]
	v_cvt_f64_f32_e32 v[26:27], v18
	v_mov_b32_e32 v18, s15
	global_store_dwordx2 v[12:13], v[26:27], off
	v_add_u32_e32 v12, 0xaa8c0, v1
	v_ashrrev_i32_e32 v13, 31, v12
	v_lshlrev_b64 v[12:13], 3, v[12:13]
	v_mov_b32_e32 v1, s17
	v_add_co_u32_e32 v26, vcc, s16, v12
	v_addc_co_u32_e32 v27, vcc, v1, v13, vcc
	v_fma_f64 v[21:22], v[14:15], v[21:22], s[40:41]
	global_load_dwordx2 v[26:27], v[26:27], off
	s_waitcnt vmcnt(2)
	v_mul_f64 v[28:29], v[19:20], s[8:9]
	v_cvt_i32_f64_e32 v1, v[16:17]
	v_cmp_nlt_f64_e32 vcc, s[22:23], v[8:9]
	v_cmp_nlt_f64_e64 s[2:3], s[22:23], v[19:20]
	v_cmp_ngt_f64_e64 s[4:5], s[24:25], v[19:20]
	v_fma_f64 v[21:22], v[14:15], v[21:22], 1.0
	v_rndne_f64_e32 v[28:29], v[28:29]
	v_fma_f64 v[14:15], v[14:15], v[21:22], 1.0
	v_fma_f64 v[21:22], v[28:29], s[12:13], v[19:20]
	v_ldexp_f64 v[14:15], v[14:15], v1
	v_fma_f64 v[21:22], v[28:29], s[10:11], v[21:22]
	v_cndmask_b32_e32 v1, v25, v15, vcc
	v_cvt_i32_f64_e32 v15, v[28:29]
	v_fma_f64 v[16:17], v[21:22], s[18:19], v[4:5]
	s_and_b64 vcc, s[0:1], vcc
	v_fma_f64 v[16:17], v[21:22], v[16:17], s[20:21]
	v_fma_f64 v[16:17], v[21:22], v[16:17], s[26:27]
	;; [unrolled: 1-line block ×5, first 2 shown]
	s_waitcnt vmcnt(0)
	v_mul_f64 v[8:9], v[26:27], s[8:9]
	v_fma_f64 v[16:17], v[21:22], v[16:17], s[36:37]
	v_rndne_f64_e32 v[8:9], v[8:9]
	v_fma_f64 v[16:17], v[21:22], v[16:17], s[38:39]
	v_fma_f64 v[16:17], v[21:22], v[16:17], s[40:41]
	v_fma_f64 v[16:17], v[21:22], v[16:17], 1.0
	v_fma_f64 v[16:17], v[21:22], v[16:17], 1.0
	v_fma_f64 v[21:22], v[8:9], s[12:13], v[26:27]
	v_ldexp_f64 v[15:16], v[16:17], v15
	v_fma_f64 v[21:22], v[8:9], s[10:11], v[21:22]
	v_cndmask_b32_e64 v17, 0, v1, s[0:1]
	v_cvt_i32_f64_e32 v1, v[8:9]
	v_cmp_ngt_f64_e64 s[0:1], s[24:25], v[26:27]
	v_fma_f64 v[4:5], v[21:22], s[18:19], v[4:5]
	v_fma_f64 v[4:5], v[21:22], v[4:5], s[20:21]
	;; [unrolled: 1-line block ×9, first 2 shown]
	v_fma_f64 v[4:5], v[21:22], v[4:5], 1.0
	v_fma_f64 v[4:5], v[21:22], v[4:5], 1.0
	v_cndmask_b32_e64 v21, v25, v16, s[2:3]
	v_cndmask_b32_e32 v16, 0, v14, vcc
	v_mul_f64 v[8:9], v[16:17], v[2:3]
	v_add_co_u32_e32 v6, vcc, s14, v6
	v_addc_co_u32_e32 v7, vcc, v18, v7, vcc
	s_and_b64 vcc, s[4:5], s[2:3]
	v_ldexp_f64 v[4:5], v[4:5], v1
	v_cndmask_b32_e32 v15, 0, v15, vcc
	v_cmp_nlt_f64_e32 vcc, s[22:23], v[26:27]
	v_cndmask_b32_e64 v16, 0, v21, s[4:5]
	v_cvt_f32_f64_e32 v1, v[8:9]
	v_mul_f64 v[8:9], v[15:16], v[2:3]
	s_movk_i32 s2, 0x4e
	v_cmp_eq_u32_e64 s[2:3], s2, v0
	v_sub_f32_e32 v14, v24, v1
	v_cndmask_b32_e64 v1, -v1, v14, s[2:3]
	v_cndmask_b32_e32 v5, v25, v5, vcc
	s_and_b64 vcc, s[0:1], vcc
	v_cndmask_b32_e64 v5, 0, v5, s[0:1]
	v_cndmask_b32_e32 v4, 0, v4, vcc
	v_cvt_f32_f64_e32 v14, v[8:9]
	v_cvt_f64_f32_e32 v[8:9], v1
	v_mul_f64 v[1:2], v[4:5], v[2:3]
	s_movk_i32 s0, 0x4f
	v_sub_f32_e32 v3, v24, v14
	v_cmp_eq_u32_e32 vcc, s0, v0
	v_cndmask_b32_e64 v3, -v14, v3, vcc
	global_store_dwordx2 v[6:7], v[8:9], off
	v_cvt_f64_f32_e32 v[3:4], v3
	v_mov_b32_e32 v5, s15
	v_cvt_f32_f64_e32 v6, v[1:2]
	v_add_co_u32_e32 v1, vcc, s14, v10
	v_addc_co_u32_e32 v2, vcc, v5, v11, vcc
	s_movk_i32 s0, 0x50
	global_store_dwordx2 v[1:2], v[3:4], off
	v_sub_f32_e32 v1, v24, v6
	v_cmp_eq_u32_e32 vcc, s0, v0
	v_cndmask_b32_e64 v0, -v6, v1, vcc
	v_cvt_f64_f32_e32 v[0:1], v0
	v_mov_b32_e32 v3, s15
	v_add_co_u32_e32 v2, vcc, s14, v12
	v_addc_co_u32_e32 v3, vcc, v3, v13, vcc
	global_store_dwordx2 v[2:3], v[0:1], off
.LBB2_4:
	s_endpgm
	.section	.rodata,"a",@progbits
	.p2align	6, 0x0
	.amdhsa_kernel _Z8loss_bwdIddEvPKT_PKT0_S5_PKlS2_S7_PS3_
		.amdhsa_group_segment_fixed_size 0
		.amdhsa_private_segment_fixed_size 0
		.amdhsa_kernarg_size 56
		.amdhsa_user_sgpr_count 6
		.amdhsa_user_sgpr_private_segment_buffer 1
		.amdhsa_user_sgpr_dispatch_ptr 0
		.amdhsa_user_sgpr_queue_ptr 0
		.amdhsa_user_sgpr_kernarg_segment_ptr 1
		.amdhsa_user_sgpr_dispatch_id 0
		.amdhsa_user_sgpr_flat_scratch_init 0
		.amdhsa_user_sgpr_private_segment_size 0
		.amdhsa_uses_dynamic_stack 0
		.amdhsa_system_sgpr_private_segment_wavefront_offset 0
		.amdhsa_system_sgpr_workgroup_id_x 1
		.amdhsa_system_sgpr_workgroup_id_y 1
		.amdhsa_system_sgpr_workgroup_id_z 0
		.amdhsa_system_sgpr_workgroup_info 0
		.amdhsa_system_vgpr_workitem_id 0
		.amdhsa_next_free_vgpr 32
		.amdhsa_next_free_sgpr 42
		.amdhsa_reserve_vcc 1
		.amdhsa_reserve_flat_scratch 0
		.amdhsa_float_round_mode_32 0
		.amdhsa_float_round_mode_16_64 0
		.amdhsa_float_denorm_mode_32 3
		.amdhsa_float_denorm_mode_16_64 3
		.amdhsa_dx10_clamp 1
		.amdhsa_ieee_mode 1
		.amdhsa_fp16_overflow 0
		.amdhsa_exception_fp_ieee_invalid_op 0
		.amdhsa_exception_fp_denorm_src 0
		.amdhsa_exception_fp_ieee_div_zero 0
		.amdhsa_exception_fp_ieee_overflow 0
		.amdhsa_exception_fp_ieee_underflow 0
		.amdhsa_exception_fp_ieee_inexact 0
		.amdhsa_exception_int_div_zero 0
	.end_amdhsa_kernel
	.section	.text._Z8loss_bwdIddEvPKT_PKT0_S5_PKlS2_S7_PS3_,"axG",@progbits,_Z8loss_bwdIddEvPKT_PKT0_S5_PKlS2_S7_PS3_,comdat
.Lfunc_end2:
	.size	_Z8loss_bwdIddEvPKT_PKT0_S5_PKlS2_S7_PS3_, .Lfunc_end2-_Z8loss_bwdIddEvPKT_PKT0_S5_PKlS2_S7_PS3_
                                        ; -- End function
	.set _Z8loss_bwdIddEvPKT_PKT0_S5_PKlS2_S7_PS3_.num_vgpr, 32
	.set _Z8loss_bwdIddEvPKT_PKT0_S5_PKlS2_S7_PS3_.num_agpr, 0
	.set _Z8loss_bwdIddEvPKT_PKT0_S5_PKlS2_S7_PS3_.numbered_sgpr, 42
	.set _Z8loss_bwdIddEvPKT_PKT0_S5_PKlS2_S7_PS3_.num_named_barrier, 0
	.set _Z8loss_bwdIddEvPKT_PKT0_S5_PKlS2_S7_PS3_.private_seg_size, 0
	.set _Z8loss_bwdIddEvPKT_PKT0_S5_PKlS2_S7_PS3_.uses_vcc, 1
	.set _Z8loss_bwdIddEvPKT_PKT0_S5_PKlS2_S7_PS3_.uses_flat_scratch, 0
	.set _Z8loss_bwdIddEvPKT_PKT0_S5_PKlS2_S7_PS3_.has_dyn_sized_stack, 0
	.set _Z8loss_bwdIddEvPKT_PKT0_S5_PKlS2_S7_PS3_.has_recursion, 0
	.set _Z8loss_bwdIddEvPKT_PKT0_S5_PKlS2_S7_PS3_.has_indirect_call, 0
	.section	.AMDGPU.csdata,"",@progbits
; Kernel info:
; codeLenInByte = 21588
; TotalNumSgprs: 46
; NumVgprs: 32
; ScratchSize: 0
; MemoryBound: 0
; FloatMode: 240
; IeeeMode: 1
; LDSByteSize: 0 bytes/workgroup (compile time only)
; SGPRBlocks: 5
; VGPRBlocks: 7
; NumSGPRsForWavesPerEU: 46
; NumVGPRsForWavesPerEU: 32
; Occupancy: 8
; WaveLimiterHint : 1
; COMPUTE_PGM_RSRC2:SCRATCH_EN: 0
; COMPUTE_PGM_RSRC2:USER_SGPR: 6
; COMPUTE_PGM_RSRC2:TRAP_HANDLER: 0
; COMPUTE_PGM_RSRC2:TGID_X_EN: 1
; COMPUTE_PGM_RSRC2:TGID_Y_EN: 1
; COMPUTE_PGM_RSRC2:TGID_Z_EN: 0
; COMPUTE_PGM_RSRC2:TIDIG_COMP_CNT: 0
	.section	.AMDGPU.gpr_maximums,"",@progbits
	.set amdgpu.max_num_vgpr, 0
	.set amdgpu.max_num_agpr, 0
	.set amdgpu.max_num_sgpr, 0
	.section	.AMDGPU.csdata,"",@progbits
	.type	__hip_cuid_1ac7f2e59cd9b311,@object ; @__hip_cuid_1ac7f2e59cd9b311
	.section	.bss,"aw",@nobits
	.globl	__hip_cuid_1ac7f2e59cd9b311
__hip_cuid_1ac7f2e59cd9b311:
	.byte	0                               ; 0x0
	.size	__hip_cuid_1ac7f2e59cd9b311, 1

	.ident	"AMD clang version 22.0.0git (https://github.com/RadeonOpenCompute/llvm-project roc-7.2.4 26084 f58b06dce1f9c15707c5f808fd002e18c2accf7e)"
	.section	".note.GNU-stack","",@progbits
	.addrsig
	.addrsig_sym __hip_cuid_1ac7f2e59cd9b311
	.amdgpu_metadata
---
amdhsa.kernels:
  - .args:
      - .actual_access:  read_only
        .address_space:  global
        .offset:         0
        .size:           8
        .value_kind:     global_buffer
      - .actual_access:  read_only
        .address_space:  global
        .offset:         8
        .size:           8
        .value_kind:     global_buffer
      - .actual_access:  read_only
        .address_space:  global
        .offset:         16
        .size:           8
        .value_kind:     global_buffer
      - .actual_access:  read_only
        .address_space:  global
        .offset:         24
        .size:           8
        .value_kind:     global_buffer
      - .actual_access:  read_only
        .address_space:  global
        .offset:         32
        .size:           8
        .value_kind:     global_buffer
      - .actual_access:  read_only
        .address_space:  global
        .offset:         40
        .size:           8
        .value_kind:     global_buffer
      - .actual_access:  write_only
        .address_space:  global
        .offset:         48
        .size:           8
        .value_kind:     global_buffer
    .group_segment_fixed_size: 0
    .kernarg_segment_align: 8
    .kernarg_segment_size: 56
    .language:       OpenCL C
    .language_version:
      - 2
      - 0
    .max_flat_workgroup_size: 1024
    .name:           _Z8loss_bwdI6__halfS0_EvPKT_PKT0_S6_PKlS3_S8_PS4_
    .private_segment_fixed_size: 0
    .sgpr_count:     20
    .sgpr_spill_count: 0
    .symbol:         _Z8loss_bwdI6__halfS0_EvPKT_PKT0_S6_PKlS3_S8_PS4_.kd
    .uniform_work_group_size: 1
    .uses_dynamic_stack: false
    .vgpr_count:     36
    .vgpr_spill_count: 0
    .wavefront_size: 64
  - .args:
      - .actual_access:  read_only
        .address_space:  global
        .offset:         0
        .size:           8
        .value_kind:     global_buffer
      - .actual_access:  read_only
        .address_space:  global
        .offset:         8
        .size:           8
        .value_kind:     global_buffer
      - .actual_access:  read_only
        .address_space:  global
        .offset:         16
        .size:           8
        .value_kind:     global_buffer
      - .actual_access:  read_only
        .address_space:  global
        .offset:         24
        .size:           8
        .value_kind:     global_buffer
      - .actual_access:  read_only
        .address_space:  global
        .offset:         32
        .size:           8
        .value_kind:     global_buffer
      - .actual_access:  read_only
        .address_space:  global
        .offset:         40
        .size:           8
        .value_kind:     global_buffer
      - .actual_access:  write_only
        .address_space:  global
        .offset:         48
        .size:           8
        .value_kind:     global_buffer
    .group_segment_fixed_size: 0
    .kernarg_segment_align: 8
    .kernarg_segment_size: 56
    .language:       OpenCL C
    .language_version:
      - 2
      - 0
    .max_flat_workgroup_size: 1024
    .name:           _Z8loss_bwdIffEvPKT_PKT0_S5_PKlS2_S7_PS3_
    .private_segment_fixed_size: 0
    .sgpr_count:     20
    .sgpr_spill_count: 0
    .symbol:         _Z8loss_bwdIffEvPKT_PKT0_S5_PKlS2_S7_PS3_.kd
    .uniform_work_group_size: 1
    .uses_dynamic_stack: false
    .vgpr_count:     37
    .vgpr_spill_count: 0
    .wavefront_size: 64
  - .args:
      - .actual_access:  read_only
        .address_space:  global
        .offset:         0
        .size:           8
        .value_kind:     global_buffer
      - .actual_access:  read_only
        .address_space:  global
        .offset:         8
        .size:           8
        .value_kind:     global_buffer
      - .actual_access:  read_only
        .address_space:  global
        .offset:         16
        .size:           8
        .value_kind:     global_buffer
      - .actual_access:  read_only
        .address_space:  global
        .offset:         24
        .size:           8
        .value_kind:     global_buffer
      - .actual_access:  read_only
        .address_space:  global
        .offset:         32
        .size:           8
        .value_kind:     global_buffer
      - .actual_access:  read_only
        .address_space:  global
        .offset:         40
        .size:           8
        .value_kind:     global_buffer
      - .actual_access:  write_only
        .address_space:  global
        .offset:         48
        .size:           8
        .value_kind:     global_buffer
    .group_segment_fixed_size: 0
    .kernarg_segment_align: 8
    .kernarg_segment_size: 56
    .language:       OpenCL C
    .language_version:
      - 2
      - 0
    .max_flat_workgroup_size: 1024
    .name:           _Z8loss_bwdIddEvPKT_PKT0_S5_PKlS2_S7_PS3_
    .private_segment_fixed_size: 0
    .sgpr_count:     46
    .sgpr_spill_count: 0
    .symbol:         _Z8loss_bwdIddEvPKT_PKT0_S5_PKlS2_S7_PS3_.kd
    .uniform_work_group_size: 1
    .uses_dynamic_stack: false
    .vgpr_count:     32
    .vgpr_spill_count: 0
    .wavefront_size: 64
amdhsa.target:   amdgcn-amd-amdhsa--gfx906
amdhsa.version:
  - 1
  - 2
...

	.end_amdgpu_metadata
